;; amdgpu-corpus repo=ROCm/rocFFT kind=compiled arch=gfx906 opt=O3
	.text
	.amdgcn_target "amdgcn-amd-amdhsa--gfx906"
	.amdhsa_code_object_version 6
	.protected	fft_rtc_fwd_len3000_factors_10_3_10_10_wgs_100_tpt_100_halfLds_sp_op_CI_CI_unitstride_sbrr_dirReg ; -- Begin function fft_rtc_fwd_len3000_factors_10_3_10_10_wgs_100_tpt_100_halfLds_sp_op_CI_CI_unitstride_sbrr_dirReg
	.globl	fft_rtc_fwd_len3000_factors_10_3_10_10_wgs_100_tpt_100_halfLds_sp_op_CI_CI_unitstride_sbrr_dirReg
	.p2align	8
	.type	fft_rtc_fwd_len3000_factors_10_3_10_10_wgs_100_tpt_100_halfLds_sp_op_CI_CI_unitstride_sbrr_dirReg,@function
fft_rtc_fwd_len3000_factors_10_3_10_10_wgs_100_tpt_100_halfLds_sp_op_CI_CI_unitstride_sbrr_dirReg: ; @fft_rtc_fwd_len3000_factors_10_3_10_10_wgs_100_tpt_100_halfLds_sp_op_CI_CI_unitstride_sbrr_dirReg
; %bb.0:
	s_load_dwordx4 s[8:11], s[4:5], 0x58
	s_load_dwordx4 s[12:15], s[4:5], 0x0
	;; [unrolled: 1-line block ×3, first 2 shown]
	v_mul_u32_u24_e32 v1, 0x290, v0
	v_mov_b32_e32 v5, 0
	v_mov_b32_e32 v13, 0
	s_waitcnt lgkmcnt(0)
	v_cmp_lt_u64_e64 s[0:1], s[14:15], 2
	v_add_u32_sdwa v7, s6, v1 dst_sel:DWORD dst_unused:UNUSED_PAD src0_sel:DWORD src1_sel:WORD_1
	v_mov_b32_e32 v8, v5
	s_and_b64 vcc, exec, s[0:1]
	v_mov_b32_e32 v14, 0
	s_cbranch_vccnz .LBB0_8
; %bb.1:
	s_load_dwordx2 s[0:1], s[4:5], 0x10
	s_add_u32 s2, s18, 8
	s_addc_u32 s3, s19, 0
	s_add_u32 s6, s16, 8
	s_addc_u32 s7, s17, 0
	v_mov_b32_e32 v13, 0
	s_waitcnt lgkmcnt(0)
	s_add_u32 s20, s0, 8
	v_mov_b32_e32 v14, 0
	v_mov_b32_e32 v1, v13
	s_addc_u32 s21, s1, 0
	s_mov_b64 s[22:23], 1
	v_mov_b32_e32 v2, v14
.LBB0_2:                                ; =>This Inner Loop Header: Depth=1
	s_load_dwordx2 s[24:25], s[20:21], 0x0
                                        ; implicit-def: $vgpr3_vgpr4
	s_waitcnt lgkmcnt(0)
	v_or_b32_e32 v6, s25, v8
	v_cmp_ne_u64_e32 vcc, 0, v[5:6]
	s_and_saveexec_b64 s[0:1], vcc
	s_xor_b64 s[26:27], exec, s[0:1]
	s_cbranch_execz .LBB0_4
; %bb.3:                                ;   in Loop: Header=BB0_2 Depth=1
	v_cvt_f32_u32_e32 v3, s24
	v_cvt_f32_u32_e32 v4, s25
	s_sub_u32 s0, 0, s24
	s_subb_u32 s1, 0, s25
	v_mac_f32_e32 v3, 0x4f800000, v4
	v_rcp_f32_e32 v3, v3
	v_mul_f32_e32 v3, 0x5f7ffffc, v3
	v_mul_f32_e32 v4, 0x2f800000, v3
	v_trunc_f32_e32 v4, v4
	v_mac_f32_e32 v3, 0xcf800000, v4
	v_cvt_u32_f32_e32 v4, v4
	v_cvt_u32_f32_e32 v3, v3
	v_mul_lo_u32 v6, s0, v4
	v_mul_hi_u32 v9, s0, v3
	v_mul_lo_u32 v11, s1, v3
	v_mul_lo_u32 v10, s0, v3
	v_add_u32_e32 v6, v9, v6
	v_add_u32_e32 v6, v6, v11
	v_mul_hi_u32 v9, v3, v10
	v_mul_lo_u32 v11, v3, v6
	v_mul_hi_u32 v15, v3, v6
	v_mul_hi_u32 v12, v4, v10
	v_mul_lo_u32 v10, v4, v10
	v_mul_hi_u32 v16, v4, v6
	v_add_co_u32_e32 v9, vcc, v9, v11
	v_addc_co_u32_e32 v11, vcc, 0, v15, vcc
	v_mul_lo_u32 v6, v4, v6
	v_add_co_u32_e32 v9, vcc, v9, v10
	v_addc_co_u32_e32 v9, vcc, v11, v12, vcc
	v_addc_co_u32_e32 v10, vcc, 0, v16, vcc
	v_add_co_u32_e32 v6, vcc, v9, v6
	v_addc_co_u32_e32 v9, vcc, 0, v10, vcc
	v_add_co_u32_e32 v3, vcc, v3, v6
	v_addc_co_u32_e32 v4, vcc, v4, v9, vcc
	v_mul_lo_u32 v6, s0, v4
	v_mul_hi_u32 v9, s0, v3
	v_mul_lo_u32 v10, s1, v3
	v_mul_lo_u32 v11, s0, v3
	v_add_u32_e32 v6, v9, v6
	v_add_u32_e32 v6, v6, v10
	v_mul_lo_u32 v12, v3, v6
	v_mul_hi_u32 v15, v3, v11
	v_mul_hi_u32 v16, v3, v6
	v_mul_hi_u32 v10, v4, v11
	v_mul_lo_u32 v11, v4, v11
	v_mul_hi_u32 v9, v4, v6
	v_add_co_u32_e32 v12, vcc, v15, v12
	v_addc_co_u32_e32 v15, vcc, 0, v16, vcc
	v_mul_lo_u32 v6, v4, v6
	v_add_co_u32_e32 v11, vcc, v12, v11
	v_addc_co_u32_e32 v10, vcc, v15, v10, vcc
	v_addc_co_u32_e32 v9, vcc, 0, v9, vcc
	v_add_co_u32_e32 v6, vcc, v10, v6
	v_addc_co_u32_e32 v9, vcc, 0, v9, vcc
	v_add_co_u32_e32 v6, vcc, v3, v6
	v_addc_co_u32_e32 v9, vcc, v4, v9, vcc
	v_mad_u64_u32 v[3:4], s[0:1], v7, v9, 0
	v_mul_hi_u32 v10, v7, v6
	v_add_co_u32_e32 v11, vcc, v10, v3
	v_addc_co_u32_e32 v12, vcc, 0, v4, vcc
	v_mad_u64_u32 v[3:4], s[0:1], v8, v6, 0
	v_mad_u64_u32 v[9:10], s[0:1], v8, v9, 0
	v_add_co_u32_e32 v3, vcc, v11, v3
	v_addc_co_u32_e32 v3, vcc, v12, v4, vcc
	v_addc_co_u32_e32 v4, vcc, 0, v10, vcc
	v_add_co_u32_e32 v6, vcc, v3, v9
	v_addc_co_u32_e32 v9, vcc, 0, v4, vcc
	v_mul_lo_u32 v10, s25, v6
	v_mul_lo_u32 v11, s24, v9
	v_mad_u64_u32 v[3:4], s[0:1], s24, v6, 0
	v_add3_u32 v4, v4, v11, v10
	v_sub_u32_e32 v10, v8, v4
	v_mov_b32_e32 v11, s25
	v_sub_co_u32_e32 v3, vcc, v7, v3
	v_subb_co_u32_e64 v10, s[0:1], v10, v11, vcc
	v_subrev_co_u32_e64 v11, s[0:1], s24, v3
	v_subbrev_co_u32_e64 v10, s[0:1], 0, v10, s[0:1]
	v_cmp_le_u32_e64 s[0:1], s25, v10
	v_cndmask_b32_e64 v12, 0, -1, s[0:1]
	v_cmp_le_u32_e64 s[0:1], s24, v11
	v_cndmask_b32_e64 v11, 0, -1, s[0:1]
	v_cmp_eq_u32_e64 s[0:1], s25, v10
	v_cndmask_b32_e64 v10, v12, v11, s[0:1]
	v_add_co_u32_e64 v11, s[0:1], 2, v6
	v_addc_co_u32_e64 v12, s[0:1], 0, v9, s[0:1]
	v_add_co_u32_e64 v15, s[0:1], 1, v6
	v_addc_co_u32_e64 v16, s[0:1], 0, v9, s[0:1]
	v_subb_co_u32_e32 v4, vcc, v8, v4, vcc
	v_cmp_ne_u32_e64 s[0:1], 0, v10
	v_cmp_le_u32_e32 vcc, s25, v4
	v_cndmask_b32_e64 v10, v16, v12, s[0:1]
	v_cndmask_b32_e64 v12, 0, -1, vcc
	v_cmp_le_u32_e32 vcc, s24, v3
	v_cndmask_b32_e64 v3, 0, -1, vcc
	v_cmp_eq_u32_e32 vcc, s25, v4
	v_cndmask_b32_e32 v3, v12, v3, vcc
	v_cmp_ne_u32_e32 vcc, 0, v3
	v_cndmask_b32_e64 v3, v15, v11, s[0:1]
	v_cndmask_b32_e32 v4, v9, v10, vcc
	v_cndmask_b32_e32 v3, v6, v3, vcc
.LBB0_4:                                ;   in Loop: Header=BB0_2 Depth=1
	s_andn2_saveexec_b64 s[0:1], s[26:27]
	s_cbranch_execz .LBB0_6
; %bb.5:                                ;   in Loop: Header=BB0_2 Depth=1
	v_cvt_f32_u32_e32 v3, s24
	s_sub_i32 s26, 0, s24
	v_rcp_iflag_f32_e32 v3, v3
	v_mul_f32_e32 v3, 0x4f7ffffe, v3
	v_cvt_u32_f32_e32 v3, v3
	v_mul_lo_u32 v4, s26, v3
	v_mul_hi_u32 v4, v3, v4
	v_add_u32_e32 v3, v3, v4
	v_mul_hi_u32 v3, v7, v3
	v_mul_lo_u32 v4, v3, s24
	v_add_u32_e32 v6, 1, v3
	v_sub_u32_e32 v4, v7, v4
	v_subrev_u32_e32 v9, s24, v4
	v_cmp_le_u32_e32 vcc, s24, v4
	v_cndmask_b32_e32 v4, v4, v9, vcc
	v_cndmask_b32_e32 v3, v3, v6, vcc
	v_add_u32_e32 v6, 1, v3
	v_cmp_le_u32_e32 vcc, s24, v4
	v_cndmask_b32_e32 v3, v3, v6, vcc
	v_mov_b32_e32 v4, v5
.LBB0_6:                                ;   in Loop: Header=BB0_2 Depth=1
	s_or_b64 exec, exec, s[0:1]
	v_mul_lo_u32 v6, v4, s24
	v_mul_lo_u32 v11, v3, s25
	v_mad_u64_u32 v[9:10], s[0:1], v3, s24, 0
	s_load_dwordx2 s[0:1], s[6:7], 0x0
	s_load_dwordx2 s[24:25], s[2:3], 0x0
	v_add3_u32 v6, v10, v11, v6
	v_sub_co_u32_e32 v7, vcc, v7, v9
	v_subb_co_u32_e32 v6, vcc, v8, v6, vcc
	s_waitcnt lgkmcnt(0)
	v_mul_lo_u32 v8, s0, v6
	v_mul_lo_u32 v9, s1, v7
	v_mad_u64_u32 v[13:14], s[0:1], s0, v7, v[13:14]
	v_mul_lo_u32 v6, s24, v6
	v_mul_lo_u32 v10, s25, v7
	v_mad_u64_u32 v[1:2], s[0:1], s24, v7, v[1:2]
	s_add_u32 s22, s22, 1
	s_addc_u32 s23, s23, 0
	s_add_u32 s2, s2, 8
	v_add3_u32 v2, v10, v2, v6
	s_addc_u32 s3, s3, 0
	v_mov_b32_e32 v6, s14
	s_add_u32 s6, s6, 8
	v_mov_b32_e32 v7, s15
	s_addc_u32 s7, s7, 0
	v_cmp_ge_u64_e32 vcc, s[22:23], v[6:7]
	s_add_u32 s20, s20, 8
	v_add3_u32 v14, v9, v14, v8
	s_addc_u32 s21, s21, 0
	s_cbranch_vccnz .LBB0_9
; %bb.7:                                ;   in Loop: Header=BB0_2 Depth=1
	v_mov_b32_e32 v8, v4
	v_mov_b32_e32 v7, v3
	s_branch .LBB0_2
.LBB0_8:
	v_mov_b32_e32 v1, v13
	v_mov_b32_e32 v3, v7
	;; [unrolled: 1-line block ×4, first 2 shown]
.LBB0_9:
	s_load_dwordx2 s[0:1], s[4:5], 0x28
	s_lshl_b64 s[6:7], s[14:15], 3
	s_add_u32 s2, s18, s6
	s_addc_u32 s3, s19, s7
                                        ; implicit-def: $vgpr73
	s_waitcnt lgkmcnt(0)
	v_cmp_gt_u64_e32 vcc, s[0:1], v[3:4]
	v_cmp_le_u64_e64 s[0:1], s[0:1], v[3:4]
	s_and_saveexec_b64 s[4:5], s[0:1]
	s_xor_b64 s[0:1], exec, s[4:5]
; %bb.10:
	s_mov_b32 s4, 0x28f5c29
	v_mul_hi_u32 v5, v0, s4
                                        ; implicit-def: $vgpr13_vgpr14
	v_mul_u32_u24_e32 v5, 0x64, v5
	v_sub_u32_e32 v73, v0, v5
                                        ; implicit-def: $vgpr0
; %bb.11:
	s_or_saveexec_b64 s[4:5], s[0:1]
                                        ; implicit-def: $vgpr37
                                        ; implicit-def: $vgpr66
                                        ; implicit-def: $vgpr33
                                        ; implicit-def: $vgpr43
                                        ; implicit-def: $vgpr35
                                        ; implicit-def: $vgpr41
                                        ; implicit-def: $vgpr26
                                        ; implicit-def: $vgpr39
                                        ; implicit-def: $vgpr29
                                        ; implicit-def: $vgpr31
                                        ; implicit-def: $vgpr47
                                        ; implicit-def: $vgpr53
                                        ; implicit-def: $vgpr19
                                        ; implicit-def: $vgpr68
                                        ; implicit-def: $vgpr45
                                        ; implicit-def: $vgpr51
                                        ; implicit-def: $vgpr12
                                        ; implicit-def: $vgpr49
                                        ; implicit-def: $vgpr15
                                        ; implicit-def: $vgpr17
                                        ; implicit-def: $vgpr55
                                        ; implicit-def: $vgpr61
                                        ; implicit-def: $vgpr23
                                        ; implicit-def: $vgpr63
                                        ; implicit-def: $vgpr21
                                        ; implicit-def: $vgpr59
                                        ; implicit-def: $vgpr10
                                        ; implicit-def: $vgpr57
                                        ; implicit-def: $vgpr8
                                        ; implicit-def: $vgpr6
	s_xor_b64 exec, exec, s[4:5]
	s_cbranch_execz .LBB0_13
; %bb.12:
	s_add_u32 s0, s16, s6
	s_addc_u32 s1, s17, s7
	s_load_dwordx2 s[0:1], s[0:1], 0x0
	s_mov_b32 s6, 0x28f5c29
	v_mul_hi_u32 v7, v0, s6
	s_waitcnt lgkmcnt(0)
	v_mul_lo_u32 v8, s1, v3
	v_mul_lo_u32 v9, s0, v4
	v_mad_u64_u32 v[5:6], s[0:1], s0, v3, 0
	v_mul_u32_u24_e32 v7, 0x64, v7
	v_sub_u32_e32 v73, v0, v7
	v_add3_u32 v6, v6, v9, v8
	v_lshlrev_b64 v[5:6], 3, v[5:6]
	v_mov_b32_e32 v0, s9
	v_add_co_u32_e64 v7, s[0:1], s8, v5
	v_addc_co_u32_e64 v0, s[0:1], v0, v6, s[0:1]
	v_lshlrev_b64 v[5:6], 3, v[13:14]
	v_add_co_u32_e64 v5, s[0:1], v7, v5
	v_addc_co_u32_e64 v0, s[0:1], v0, v6, s[0:1]
	v_lshlrev_b32_e32 v6, 3, v73
	v_add_co_u32_e64 v18, s[0:1], v5, v6
	v_addc_co_u32_e64 v19, s[0:1], 0, v0, s[0:1]
	s_movk_i32 s0, 0x1000
	v_add_co_u32_e64 v22, s[0:1], s0, v18
	v_addc_co_u32_e64 v23, s[0:1], 0, v19, s[0:1]
	s_movk_i32 s0, 0x2000
	;; [unrolled: 3-line block ×5, first 2 shown]
	v_add_co_u32_e64 v76, s[0:1], s0, v18
	v_addc_co_u32_e64 v77, s[0:1], 0, v19, s[0:1]
	global_load_dwordx2 v[5:6], v[18:19], off
	global_load_dwordx2 v[16:17], v[18:19], off offset:800
	global_load_dwordx2 v[14:15], v[18:19], off offset:3200
	;; [unrolled: 1-line block ×14, first 2 shown]
                                        ; kill: killed $vgpr22 killed $vgpr23
                                        ; kill: killed $vgpr18 killed $vgpr19
	global_load_dwordx2 v[40:41], v[69:70], off offset:3008
	global_load_dwordx2 v[60:61], v[74:75], off offset:2816
	global_load_dwordx2 v[52:53], v[74:75], off offset:3616
	global_load_dwordx2 v[18:19], v[74:75], off offset:1216
	global_load_dwordx2 v[32:33], v[74:75], off offset:2016
	global_load_dwordx2 v[44:45], v[71:72], off offset:512
	global_load_dwordx2 v[67:68], v[71:72], off offset:2912
	global_load_dwordx2 v[62:63], v[71:72], off offset:2112
	global_load_dwordx2 v[34:35], v[71:72], off offset:1312
	global_load_dwordx2 v[22:23], v[74:75], off offset:416
	global_load_dwordx2 v[42:43], v[71:72], off offset:3712
	global_load_dwordx2 v[54:55], v[76:77], off offset:1120
	global_load_dwordx2 v[65:66], v[76:77], off offset:320
	global_load_dwordx2 v[46:47], v[76:77], off offset:1920
	global_load_dwordx2 v[36:37], v[76:77], off offset:2720
.LBB0_13:
	s_or_b64 exec, exec, s[4:5]
	s_waitcnt vmcnt(7)
	v_add_f32_e32 v13, v62, v58
	v_fma_f32 v13, -0.5, v13, v5
	v_sub_f32_e32 v24, v57, v61
	v_mov_b32_e32 v27, v13
	v_fmac_f32_e32 v27, 0x3f737871, v24
	v_sub_f32_e32 v64, v59, v63
	v_sub_f32_e32 v69, v56, v58
	;; [unrolled: 1-line block ×3, first 2 shown]
	v_fmac_f32_e32 v13, 0xbf737871, v24
	v_fmac_f32_e32 v27, 0x3f167918, v64
	v_add_f32_e32 v69, v70, v69
	v_fmac_f32_e32 v13, 0xbf167918, v64
	v_fmac_f32_e32 v27, 0x3e9e377a, v69
	;; [unrolled: 1-line block ×3, first 2 shown]
	v_add_f32_e32 v69, v60, v56
	v_add_f32_e32 v0, v56, v5
	v_fmac_f32_e32 v5, -0.5, v69
	v_mov_b32_e32 v69, v5
	v_fmac_f32_e32 v69, 0xbf737871, v64
	v_fmac_f32_e32 v5, 0x3f737871, v64
	;; [unrolled: 1-line block ×4, first 2 shown]
	v_add_f32_e32 v24, v57, v6
	v_sub_f32_e32 v70, v58, v56
	v_sub_f32_e32 v71, v62, v60
	v_add_f32_e32 v24, v59, v24
	v_add_f32_e32 v70, v71, v70
	;; [unrolled: 1-line block ×3, first 2 shown]
	v_fmac_f32_e32 v69, 0x3e9e377a, v70
	v_fmac_f32_e32 v5, 0x3e9e377a, v70
	v_add_f32_e32 v70, v61, v24
	v_add_f32_e32 v24, v63, v59
	;; [unrolled: 1-line block ×3, first 2 shown]
	v_fma_f32 v71, -0.5, v24, v6
	v_add_f32_e32 v0, v62, v0
	v_sub_f32_e32 v24, v56, v60
	v_mov_b32_e32 v72, v71
	v_add_f32_e32 v0, v60, v0
	v_fmac_f32_e32 v72, 0xbf737871, v24
	v_sub_f32_e32 v56, v58, v62
	v_sub_f32_e32 v58, v57, v59
	;; [unrolled: 1-line block ×3, first 2 shown]
	v_fmac_f32_e32 v71, 0x3f737871, v24
	v_fmac_f32_e32 v72, 0xbf167918, v56
	v_add_f32_e32 v58, v60, v58
	v_fmac_f32_e32 v71, 0x3f167918, v56
	v_fmac_f32_e32 v72, 0x3e9e377a, v58
	;; [unrolled: 1-line block ×3, first 2 shown]
	v_add_f32_e32 v58, v61, v57
	v_fmac_f32_e32 v6, -0.5, v58
	v_mov_b32_e32 v74, v6
	v_fmac_f32_e32 v74, 0x3f737871, v56
	v_fmac_f32_e32 v6, 0xbf737871, v56
	;; [unrolled: 1-line block ×4, first 2 shown]
	v_add_f32_e32 v24, v9, v7
	v_add_f32_e32 v24, v20, v24
	s_waitcnt vmcnt(5)
	v_add_f32_e32 v24, v22, v24
	s_waitcnt vmcnt(3)
	v_add_f32_e32 v56, v54, v24
	v_add_f32_e32 v24, v22, v20
	v_sub_f32_e32 v57, v59, v57
	v_sub_f32_e32 v58, v63, v61
	v_fma_f32 v59, -0.5, v24, v7
	v_add_f32_e32 v57, v58, v57
	v_sub_f32_e32 v24, v10, v55
	v_mov_b32_e32 v60, v59
	v_fmac_f32_e32 v74, 0x3e9e377a, v57
	v_fmac_f32_e32 v6, 0x3e9e377a, v57
	;; [unrolled: 1-line block ×3, first 2 shown]
	v_sub_f32_e32 v57, v21, v23
	v_sub_f32_e32 v58, v9, v20
	;; [unrolled: 1-line block ×3, first 2 shown]
	v_fmac_f32_e32 v59, 0xbf737871, v24
	v_fmac_f32_e32 v60, 0x3f167918, v57
	v_add_f32_e32 v58, v61, v58
	v_fmac_f32_e32 v59, 0xbf167918, v57
	v_fmac_f32_e32 v60, 0x3e9e377a, v58
	;; [unrolled: 1-line block ×3, first 2 shown]
	v_add_f32_e32 v58, v54, v9
	v_fmac_f32_e32 v7, -0.5, v58
	v_mov_b32_e32 v61, v7
	v_fmac_f32_e32 v61, 0xbf737871, v57
	v_fmac_f32_e32 v7, 0x3f737871, v57
	;; [unrolled: 1-line block ×4, first 2 shown]
	v_add_f32_e32 v24, v10, v8
	v_add_f32_e32 v24, v21, v24
	v_add_f32_e32 v24, v23, v24
	v_sub_f32_e32 v58, v20, v9
	v_sub_f32_e32 v62, v22, v54
	v_add_f32_e32 v75, v55, v24
	v_add_f32_e32 v24, v23, v21
	;; [unrolled: 1-line block ×3, first 2 shown]
	v_fma_f32 v62, -0.5, v24, v8
	v_sub_f32_e32 v9, v9, v54
	v_mov_b32_e32 v24, v62
	v_fmac_f32_e32 v24, 0xbf737871, v9
	v_sub_f32_e32 v20, v20, v22
	v_sub_f32_e32 v22, v10, v21
	;; [unrolled: 1-line block ×3, first 2 shown]
	v_fmac_f32_e32 v62, 0x3f737871, v9
	v_fmac_f32_e32 v24, 0xbf167918, v20
	v_add_f32_e32 v22, v54, v22
	v_fmac_f32_e32 v62, 0x3f167918, v20
	v_fmac_f32_e32 v24, 0x3e9e377a, v22
	;; [unrolled: 1-line block ×3, first 2 shown]
	v_add_f32_e32 v22, v55, v10
	v_fmac_f32_e32 v8, -0.5, v22
	v_mov_b32_e32 v54, v8
	v_sub_f32_e32 v10, v21, v10
	v_sub_f32_e32 v21, v23, v55
	v_fmac_f32_e32 v8, 0xbf737871, v20
	v_fmac_f32_e32 v7, 0x3e9e377a, v58
	;; [unrolled: 1-line block ×3, first 2 shown]
	v_add_f32_e32 v10, v21, v10
	v_fmac_f32_e32 v8, 0x3f167918, v9
	s_load_dwordx2 s[0:1], s[2:3], 0x0
	s_mov_b32 s2, 0x3f737871
	s_mov_b32 s3, 0x3f167918
	v_fmac_f32_e32 v61, 0x3e9e377a, v58
	v_fmac_f32_e32 v54, 0xbf167918, v9
	v_fmac_f32_e32 v8, 0x3e9e377a, v10
	v_mul_f32_e32 v20, 0x3e9e377a, v7
	v_mul_f32_e32 v21, 0x3f4f1bbd, v59
	s_mov_b32 s4, 0xbf737871
	v_fmac_f32_e32 v54, 0x3e9e377a, v10
	v_mul_f32_e32 v10, 0x3e9e377a, v61
	v_fma_f32 v20, v8, s2, -v20
	v_fma_f32 v76, v62, s3, -v21
	v_mul_f32_e32 v78, 0xbf737871, v61
	v_mul_f32_e32 v8, 0x3e9e377a, v8
	;; [unrolled: 1-line block ×3, first 2 shown]
	v_fmac_f32_e32 v10, 0x3f737871, v54
	v_add_f32_e32 v55, v13, v76
	v_fmac_f32_e32 v78, 0x3e9e377a, v54
	v_fma_f32 v54, v7, s4, -v8
	v_mul_f32_e32 v7, 0x3f4f1bbd, v62
	v_sub_f32_e32 v62, v13, v76
	v_add_f32_e32 v13, v67, v50
	s_mov_b32 s5, 0xbf167918
	v_fmac_f32_e32 v9, 0x3f167918, v24
	v_add_f32_e32 v64, v5, v20
	v_sub_f32_e32 v61, v5, v20
	v_fma_f32 v20, -0.5, v13, v16
	v_add_f32_e32 v58, v27, v9
	v_mul_f32_e32 v77, 0xbf167918, v60
	v_fma_f32 v79, v59, s5, -v7
	v_sub_f32_e32 v59, v27, v9
	v_sub_f32_e32 v13, v49, v53
	v_mov_b32_e32 v27, v20
	v_add_f32_e32 v63, v69, v10
	v_add_f32_e32 v21, v75, v70
	v_fmac_f32_e32 v77, 0x3f4f1bbd, v24
	v_add_f32_e32 v24, v6, v54
	v_sub_f32_e32 v60, v69, v10
	v_sub_f32_e32 v8, v70, v75
	;; [unrolled: 1-line block ×3, first 2 shown]
	v_fmac_f32_e32 v27, 0x3f737871, v13
	v_sub_f32_e32 v54, v51, v68
	v_sub_f32_e32 v69, v48, v50
	;; [unrolled: 1-line block ×3, first 2 shown]
	v_fmac_f32_e32 v20, 0xbf737871, v13
	v_fmac_f32_e32 v27, 0x3f167918, v54
	v_add_f32_e32 v69, v70, v69
	v_fmac_f32_e32 v20, 0xbf167918, v54
	v_fmac_f32_e32 v27, 0x3e9e377a, v69
	;; [unrolled: 1-line block ×3, first 2 shown]
	v_add_f32_e32 v69, v52, v48
	v_add_f32_e32 v57, v56, v0
	v_sub_f32_e32 v56, v0, v56
	v_add_f32_e32 v0, v48, v16
	v_fmac_f32_e32 v16, -0.5, v69
	v_mov_b32_e32 v69, v16
	v_fmac_f32_e32 v69, 0xbf737871, v54
	v_fmac_f32_e32 v16, 0x3f737871, v54
	;; [unrolled: 1-line block ×4, first 2 shown]
	v_add_f32_e32 v13, v49, v17
	v_add_f32_e32 v7, v71, v79
	v_sub_f32_e32 v6, v71, v79
	v_sub_f32_e32 v70, v50, v48
	;; [unrolled: 1-line block ×3, first 2 shown]
	v_add_f32_e32 v13, v51, v13
	v_add_f32_e32 v70, v71, v70
	;; [unrolled: 1-line block ×3, first 2 shown]
	v_fmac_f32_e32 v69, 0x3e9e377a, v70
	v_fmac_f32_e32 v16, 0x3e9e377a, v70
	v_add_f32_e32 v70, v53, v13
	v_add_f32_e32 v13, v68, v51
	;; [unrolled: 1-line block ×3, first 2 shown]
	v_fma_f32 v71, -0.5, v13, v17
	v_add_f32_e32 v22, v72, v77
	v_sub_f32_e32 v9, v72, v77
	v_add_f32_e32 v0, v67, v0
	v_sub_f32_e32 v13, v48, v52
	v_mov_b32_e32 v72, v71
	v_add_f32_e32 v0, v52, v0
	v_fmac_f32_e32 v72, 0xbf737871, v13
	v_sub_f32_e32 v48, v50, v67
	v_sub_f32_e32 v50, v49, v51
	;; [unrolled: 1-line block ×3, first 2 shown]
	v_fmac_f32_e32 v71, 0x3f737871, v13
	v_fmac_f32_e32 v72, 0xbf167918, v48
	v_add_f32_e32 v50, v52, v50
	v_fmac_f32_e32 v71, 0x3f167918, v48
	v_fmac_f32_e32 v72, 0x3e9e377a, v50
	;; [unrolled: 1-line block ×3, first 2 shown]
	v_add_f32_e32 v50, v53, v49
	v_fmac_f32_e32 v17, -0.5, v50
	v_mov_b32_e32 v67, v17
	v_fmac_f32_e32 v67, 0x3f737871, v48
	v_fmac_f32_e32 v17, 0xbf737871, v48
	;; [unrolled: 1-line block ×4, first 2 shown]
	v_add_f32_e32 v13, v11, v14
	v_add_f32_e32 v13, v44, v13
	v_sub_f32_e32 v49, v51, v49
	v_sub_f32_e32 v50, v68, v53
	v_add_f32_e32 v13, v18, v13
	v_add_f32_e32 v49, v50, v49
	s_waitcnt vmcnt(1)
	v_add_f32_e32 v48, v46, v13
	v_add_f32_e32 v13, v18, v44
	v_fmac_f32_e32 v67, 0x3e9e377a, v49
	v_fmac_f32_e32 v17, 0x3e9e377a, v49
	v_fma_f32 v49, -0.5, v13, v14
	v_sub_f32_e32 v13, v12, v47
	v_mov_b32_e32 v50, v49
	v_fmac_f32_e32 v50, 0x3f737871, v13
	v_sub_f32_e32 v51, v45, v19
	v_sub_f32_e32 v52, v11, v44
	;; [unrolled: 1-line block ×3, first 2 shown]
	v_fmac_f32_e32 v49, 0xbf737871, v13
	v_fmac_f32_e32 v50, 0x3f167918, v51
	v_add_f32_e32 v52, v53, v52
	v_fmac_f32_e32 v49, 0xbf167918, v51
	v_fmac_f32_e32 v50, 0x3e9e377a, v52
	;; [unrolled: 1-line block ×3, first 2 shown]
	v_add_f32_e32 v52, v46, v11
	v_fmac_f32_e32 v14, -0.5, v52
	v_mov_b32_e32 v68, v14
	v_fmac_f32_e32 v68, 0xbf737871, v51
	v_fmac_f32_e32 v14, 0x3f737871, v51
	;; [unrolled: 1-line block ×4, first 2 shown]
	v_add_f32_e32 v13, v12, v15
	v_add_f32_e32 v13, v45, v13
	v_add_f32_e32 v13, v19, v13
	v_add_f32_e32 v23, v74, v78
	v_sub_f32_e32 v10, v74, v78
	v_add_f32_e32 v74, v47, v13
	v_add_f32_e32 v13, v19, v45
	v_fma_f32 v75, -0.5, v13, v15
	v_sub_f32_e32 v52, v44, v11
	v_sub_f32_e32 v11, v11, v46
	v_mov_b32_e32 v13, v75
	v_sub_f32_e32 v53, v18, v46
	v_fmac_f32_e32 v13, 0xbf737871, v11
	v_sub_f32_e32 v18, v44, v18
	v_sub_f32_e32 v44, v12, v45
	;; [unrolled: 1-line block ×3, first 2 shown]
	v_fmac_f32_e32 v75, 0x3f737871, v11
	v_fmac_f32_e32 v13, 0xbf167918, v18
	v_add_f32_e32 v44, v46, v44
	v_fmac_f32_e32 v75, 0x3f167918, v18
	v_fmac_f32_e32 v13, 0x3e9e377a, v44
	v_fmac_f32_e32 v75, 0x3e9e377a, v44
	v_add_f32_e32 v44, v47, v12
	v_fmac_f32_e32 v15, -0.5, v44
	v_add_f32_e32 v52, v53, v52
	v_mov_b32_e32 v44, v15
	v_sub_f32_e32 v12, v45, v12
	v_sub_f32_e32 v19, v19, v47
	v_fmac_f32_e32 v15, 0xbf737871, v18
	v_fmac_f32_e32 v14, 0x3e9e377a, v52
	;; [unrolled: 1-line block ×3, first 2 shown]
	v_add_f32_e32 v12, v19, v12
	v_fmac_f32_e32 v15, 0x3f167918, v11
	v_fmac_f32_e32 v68, 0x3e9e377a, v52
	;; [unrolled: 1-line block ×4, first 2 shown]
	v_mul_f32_e32 v18, 0x3f4f1bbd, v50
	v_mul_f32_e32 v11, 0x3e9e377a, v14
	v_fmac_f32_e32 v44, 0x3e9e377a, v12
	v_fmac_f32_e32 v18, 0x3f167918, v13
	v_mul_f32_e32 v19, 0x3e9e377a, v68
	v_fma_f32 v76, v15, s2, -v11
	v_mul_f32_e32 v11, 0x3f4f1bbd, v49
	v_mul_f32_e32 v68, 0xbf737871, v68
	v_add_f32_e32 v52, v27, v18
	v_fma_f32 v77, v75, s3, -v11
	v_mul_f32_e32 v78, 0xbf167918, v50
	v_fmac_f32_e32 v68, 0x3e9e377a, v44
	v_sub_f32_e32 v47, v27, v18
	v_add_f32_e32 v27, v42, v40
	v_add_f32_e32 v45, v20, v77
	v_fmac_f32_e32 v78, 0x3f4f1bbd, v13
	v_add_f32_e32 v13, v67, v68
	v_mul_f32_e32 v15, 0x3e9e377a, v15
	v_sub_f32_e32 v50, v20, v77
	v_sub_f32_e32 v20, v67, v68
	v_fma_f32 v67, -0.5, v27, v30
	v_fmac_f32_e32 v19, 0x3f737871, v44
	v_fma_f32 v44, v14, s4, -v15
	v_mul_f32_e32 v15, 0x3f4f1bbd, v75
	v_sub_f32_e32 v27, v39, v66
	v_mov_b32_e32 v68, v67
	v_add_f32_e32 v51, v48, v0
	v_add_f32_e32 v53, v69, v19
	;; [unrolled: 1-line block ×5, first 2 shown]
	v_fma_f32 v75, v49, s5, -v15
	v_sub_f32_e32 v46, v0, v48
	v_sub_f32_e32 v48, v69, v19
	;; [unrolled: 1-line block ×5, first 2 shown]
	v_fmac_f32_e32 v68, 0x3f737871, v27
	v_sub_f32_e32 v44, v41, v43
	v_sub_f32_e32 v69, v38, v40
	;; [unrolled: 1-line block ×3, first 2 shown]
	v_fmac_f32_e32 v67, 0xbf737871, v27
	v_fmac_f32_e32 v68, 0x3f167918, v44
	v_add_f32_e32 v69, v70, v69
	v_fmac_f32_e32 v67, 0xbf167918, v44
	v_fmac_f32_e32 v68, 0x3e9e377a, v69
	;; [unrolled: 1-line block ×3, first 2 shown]
	v_add_f32_e32 v69, v65, v38
	v_add_f32_e32 v0, v38, v30
	v_fmac_f32_e32 v30, -0.5, v69
	v_mov_b32_e32 v69, v30
	v_fmac_f32_e32 v69, 0xbf737871, v44
	v_fmac_f32_e32 v30, 0x3f737871, v44
	;; [unrolled: 1-line block ×4, first 2 shown]
	v_add_f32_e32 v27, v39, v31
	v_add_f32_e32 v15, v71, v75
	v_sub_f32_e32 v18, v71, v75
	v_sub_f32_e32 v70, v40, v38
	;; [unrolled: 1-line block ×3, first 2 shown]
	v_add_f32_e32 v27, v41, v27
	v_add_f32_e32 v70, v71, v70
	;; [unrolled: 1-line block ×4, first 2 shown]
	v_fmac_f32_e32 v69, 0x3e9e377a, v70
	v_fmac_f32_e32 v30, 0x3e9e377a, v70
	v_add_f32_e32 v70, v66, v27
	v_add_f32_e32 v27, v43, v41
	;; [unrolled: 1-line block ×3, first 2 shown]
	v_fma_f32 v71, -0.5, v27, v31
	v_add_f32_e32 v0, v65, v0
	v_sub_f32_e32 v27, v38, v65
	v_mov_b32_e32 v65, v71
	v_fmac_f32_e32 v65, 0xbf737871, v27
	v_sub_f32_e32 v38, v40, v42
	v_sub_f32_e32 v40, v39, v41
	;; [unrolled: 1-line block ×3, first 2 shown]
	v_fmac_f32_e32 v71, 0x3f737871, v27
	v_fmac_f32_e32 v65, 0xbf167918, v38
	v_add_f32_e32 v40, v42, v40
	v_fmac_f32_e32 v71, 0x3f167918, v38
	v_fmac_f32_e32 v65, 0x3e9e377a, v40
	;; [unrolled: 1-line block ×3, first 2 shown]
	v_add_f32_e32 v40, v66, v39
	v_fmac_f32_e32 v31, -0.5, v40
	v_add_f32_e32 v12, v72, v78
	v_sub_f32_e32 v19, v72, v78
	v_mov_b32_e32 v72, v31
	v_fmac_f32_e32 v72, 0x3f737871, v38
	v_fmac_f32_e32 v31, 0xbf737871, v38
	;; [unrolled: 1-line block ×4, first 2 shown]
	v_add_f32_e32 v27, v25, v28
	v_add_f32_e32 v27, v34, v27
	v_sub_f32_e32 v39, v41, v39
	v_sub_f32_e32 v40, v43, v66
	v_add_f32_e32 v27, v32, v27
	v_add_f32_e32 v39, v40, v39
	s_waitcnt vmcnt(0)
	v_add_f32_e32 v38, v36, v27
	v_add_f32_e32 v27, v32, v34
	v_fmac_f32_e32 v72, 0x3e9e377a, v39
	v_fmac_f32_e32 v31, 0x3e9e377a, v39
	v_fma_f32 v39, -0.5, v27, v28
	v_sub_f32_e32 v27, v26, v37
	v_mov_b32_e32 v40, v39
	v_fmac_f32_e32 v40, 0x3f737871, v27
	v_sub_f32_e32 v41, v35, v33
	v_sub_f32_e32 v42, v25, v34
	;; [unrolled: 1-line block ×3, first 2 shown]
	v_fmac_f32_e32 v39, 0xbf737871, v27
	v_fmac_f32_e32 v40, 0x3f167918, v41
	v_add_f32_e32 v42, v43, v42
	v_fmac_f32_e32 v39, 0xbf167918, v41
	v_fmac_f32_e32 v40, 0x3e9e377a, v42
	;; [unrolled: 1-line block ×3, first 2 shown]
	v_add_f32_e32 v42, v36, v25
	v_fmac_f32_e32 v28, -0.5, v42
	v_mov_b32_e32 v66, v28
	v_fmac_f32_e32 v66, 0xbf737871, v41
	v_fmac_f32_e32 v28, 0x3f737871, v41
	;; [unrolled: 1-line block ×4, first 2 shown]
	v_add_f32_e32 v27, v26, v29
	v_add_f32_e32 v27, v35, v27
	;; [unrolled: 1-line block ×5, first 2 shown]
	v_fma_f32 v75, -0.5, v27, v29
	v_sub_f32_e32 v42, v34, v25
	v_sub_f32_e32 v25, v25, v36
	v_mov_b32_e32 v27, v75
	v_sub_f32_e32 v43, v32, v36
	v_fmac_f32_e32 v27, 0xbf737871, v25
	v_sub_f32_e32 v32, v34, v32
	v_sub_f32_e32 v34, v26, v35
	;; [unrolled: 1-line block ×3, first 2 shown]
	v_fmac_f32_e32 v75, 0x3f737871, v25
	v_fmac_f32_e32 v27, 0xbf167918, v32
	v_add_f32_e32 v34, v36, v34
	v_fmac_f32_e32 v75, 0x3f167918, v32
	v_fmac_f32_e32 v27, 0x3e9e377a, v34
	;; [unrolled: 1-line block ×3, first 2 shown]
	v_add_f32_e32 v34, v37, v26
	v_fmac_f32_e32 v29, -0.5, v34
	v_add_f32_e32 v42, v43, v42
	v_mov_b32_e32 v34, v29
	v_sub_f32_e32 v26, v35, v26
	v_sub_f32_e32 v33, v33, v37
	v_fmac_f32_e32 v29, 0xbf737871, v32
	v_fmac_f32_e32 v28, 0x3e9e377a, v42
	;; [unrolled: 1-line block ×3, first 2 shown]
	v_add_f32_e32 v26, v33, v26
	v_fmac_f32_e32 v29, 0x3f167918, v25
	v_fmac_f32_e32 v34, 0xbf167918, v25
	;; [unrolled: 1-line block ×3, first 2 shown]
	v_mul_f32_e32 v25, 0x3e9e377a, v28
	v_fmac_f32_e32 v66, 0x3e9e377a, v42
	v_add_f32_e32 v41, v38, v0
	v_fma_f32 v35, v29, s2, -v25
	v_mul_f32_e32 v29, 0x3e9e377a, v29
	v_sub_f32_e32 v38, v0, v38
	v_mul_u32_u24_e32 v0, 10, v73
	v_fmac_f32_e32 v34, 0x3e9e377a, v26
	v_mul_f32_e32 v32, 0x3f4f1bbd, v40
	v_mul_f32_e32 v33, 0x3e9e377a, v66
	;; [unrolled: 1-line block ×5, first 2 shown]
	v_fma_f32 v77, v28, s4, -v29
	v_mul_f32_e32 v29, 0x3f4f1bbd, v75
	v_lshl_add_u32 v80, v0, 2, 0
	s_movk_i32 s6, 0xffdc
	v_fmac_f32_e32 v32, 0x3f167918, v27
	v_fmac_f32_e32 v33, 0x3f737871, v34
	v_fma_f32 v36, v75, s3, -v25
	v_fmac_f32_e32 v76, 0x3f4f1bbd, v27
	v_fmac_f32_e32 v66, 0x3e9e377a, v34
	v_fma_f32 v75, v39, s5, -v29
	v_mad_i32_i24 v0, v73, s6, v80
	v_add_f32_e32 v42, v68, v32
	v_add_f32_e32 v43, v69, v33
	;; [unrolled: 1-line block ×9, first 2 shown]
	v_sub_f32_e32 v39, v68, v32
	v_sub_f32_e32 v40, v69, v33
	;; [unrolled: 1-line block ×9, first 2 shown]
	v_add_u32_e32 v81, 0xfa0, v80
	v_add_u32_e32 v82, 0xfb0, v80
	;; [unrolled: 1-line block ×18, first 2 shown]
	s_movk_i32 s6, 0xcd
	ds_write2_b64 v80, v[57:58], v[63:64] offset1:1
	ds_write2_b64 v80, v[55:56], v[59:60] offset0:2 offset1:3
	ds_write_b64 v80, v[61:62] offset:32
	ds_write2_b64 v81, v[51:52], v[53:54] offset1:1
	ds_write2_b64 v82, v[45:46], v[47:48] offset1:1
	ds_write_b64 v80, v[49:50] offset:4032
	ds_write2_b64 v83, v[41:42], v[43:44] offset1:1
	ds_write2_b64 v84, v[37:38], v[39:40] offset1:1
	ds_write_b64 v80, v[35:36] offset:8032
	s_waitcnt lgkmcnt(0)
	s_barrier
	ds_read2_b32 v[43:44], v0 offset1:100
	ds_read2_b32 v[61:62], v65 offset0:104 offset1:204
	ds_read2_b32 v[59:60], v66 offset0:80 offset1:180
	ds_read2_b32 v[41:42], v67 offset0:72 offset1:172
	ds_read2_b32 v[47:48], v74 offset0:48 offset1:148
	ds_read2_b32 v[53:54], v68 offset0:152 offset1:252
	ds_read2_b32 v[39:40], v78 offset0:144 offset1:244
	ds_read2_b32 v[49:50], v69 offset0:120 offset1:220
	ds_read2_b32 v[51:52], v75 offset0:96 offset1:196
	ds_read2_b32 v[37:38], v76 offset0:88 offset1:188
	ds_read2_b32 v[55:56], v70 offset0:64 offset1:164
	ds_read2_b32 v[57:58], v71 offset0:40 offset1:140
	ds_read2_b32 v[35:36], v72 offset0:32 offset1:132
	ds_read2_b32 v[45:46], v77 offset0:8 offset1:108
	ds_read2_b32 v[63:64], v79 offset0:112 offset1:212
	s_waitcnt lgkmcnt(0)
	s_barrier
	ds_write2_b64 v80, v[21:22], v[23:24] offset1:1
	ds_write2_b64 v80, v[7:8], v[9:10] offset0:2 offset1:3
	ds_write_b64 v80, v[5:6] offset:32
	ds_write2_b64 v81, v[11:12], v[13:14] offset1:1
	ds_write2_b64 v82, v[15:16], v[19:20] offset1:1
	ds_write_b64 v80, v[17:18] offset:4032
	ds_write2_b64 v83, v[25:26], v[27:28] offset1:1
	ds_write2_b64 v84, v[29:30], v[33:34] offset1:1
	ds_write_b64 v80, v[31:32] offset:8032
	v_mul_lo_u16_sdwa v5, v73, s6 dst_sel:DWORD dst_unused:UNUSED_PAD src0_sel:BYTE_0 src1_sel:DWORD
	v_lshrrev_b16_e32 v18, 11, v5
	v_mul_lo_u16_e32 v5, 10, v18
	v_sub_u16_e32 v19, v73, v5
	v_mov_b32_e32 v6, 4
	v_lshlrev_b32_sdwa v5, v6, v19 dst_sel:DWORD dst_unused:UNUSED_PAD src0_sel:DWORD src1_sel:BYTE_0
	s_waitcnt lgkmcnt(0)
	s_barrier
	global_load_dwordx4 v[14:17], v5, s[12:13]
	v_add_u16_e32 v8, 0x64, v73
	v_mul_lo_u16_sdwa v5, v8, s6 dst_sel:DWORD dst_unused:UNUSED_PAD src0_sel:BYTE_0 src1_sel:DWORD
	v_lshrrev_b16_e32 v5, 11, v5
	v_mul_lo_u16_e32 v7, 10, v5
	v_sub_u16_e32 v9, v8, v7
	v_lshlrev_b32_sdwa v6, v6, v9 dst_sel:DWORD dst_unused:UNUSED_PAD src0_sel:DWORD src1_sel:BYTE_0
	v_add_u32_e32 v80, 0xc8, v73
	s_mov_b32 s6, 0xcccd
	global_load_dwordx4 v[82:85], v6, s[12:13]
	v_mul_u32_u24_sdwa v6, v80, s6 dst_sel:DWORD dst_unused:UNUSED_PAD src0_sel:WORD_0 src1_sel:DWORD
	v_lshrrev_b32_e32 v20, 19, v6
	v_mul_lo_u16_e32 v6, 10, v20
	v_sub_u16_e32 v21, v80, v6
	v_lshlrev_b32_e32 v6, 4, v21
	global_load_dwordx4 v[86:89], v6, s[12:13]
	v_add_u32_e32 v6, 0x12c, v73
	v_mul_u32_u24_sdwa v7, v6, s6 dst_sel:DWORD dst_unused:UNUSED_PAD src0_sel:WORD_0 src1_sel:DWORD
	v_lshrrev_b32_e32 v22, 19, v7
	v_mul_lo_u16_e32 v7, 10, v22
	v_sub_u16_e32 v23, v6, v7
	v_lshlrev_b32_e32 v6, 4, v23
	global_load_dwordx4 v[90:93], v6, s[12:13]
	v_add_u32_e32 v6, 0x190, v73
	v_mul_u32_u24_sdwa v11, v6, s6 dst_sel:DWORD dst_unused:UNUSED_PAD src0_sel:WORD_0 src1_sel:DWORD
	v_lshrrev_b32_e32 v24, 19, v11
	v_mul_lo_u16_e32 v11, 10, v24
	v_sub_u16_e32 v25, v6, v11
	v_add_u32_e32 v7, 0x1f4, v73
	v_lshlrev_b32_e32 v6, 4, v25
	global_load_dwordx4 v[94:97], v6, s[12:13]
	v_mul_u32_u24_sdwa v6, v7, s6 dst_sel:DWORD dst_unused:UNUSED_PAD src0_sel:WORD_0 src1_sel:DWORD
	v_lshrrev_b32_e32 v26, 19, v6
	v_mul_lo_u16_e32 v6, 10, v26
	v_sub_u16_e32 v27, v7, v6
	v_add_u32_e32 v10, 0x258, v73
	v_lshlrev_b32_e32 v6, 4, v27
	global_load_dwordx4 v[98:101], v6, s[12:13]
	v_mul_u32_u24_sdwa v6, v10, s6 dst_sel:DWORD dst_unused:UNUSED_PAD src0_sel:WORD_0 src1_sel:DWORD
	v_lshrrev_b32_e32 v28, 19, v6
	v_add_u32_e32 v11, 0x2bc, v73
	v_mul_lo_u16_e32 v6, 10, v28
	v_sub_u16_e32 v29, v10, v6
	v_mul_u32_u24_sdwa v10, v11, s6 dst_sel:DWORD dst_unused:UNUSED_PAD src0_sel:WORD_0 src1_sel:DWORD
	v_lshrrev_b32_e32 v30, 19, v10
	v_mul_lo_u16_e32 v10, 10, v30
	v_sub_u16_e32 v31, v11, v10
	v_add_u32_e32 v33, 0x320, v73
	v_lshlrev_b32_e32 v6, 4, v29
	v_lshlrev_b32_e32 v10, 4, v31
	ds_read2_b32 v[12:13], v0 offset1:100
	ds_read2_b32 v[118:119], v65 offset0:104 offset1:204
	global_load_dwordx4 v[102:105], v6, s[12:13]
	ds_read2_b32 v[120:121], v66 offset0:80 offset1:180
	ds_read2_b32 v[6:7], v67 offset0:72 offset1:172
	global_load_dwordx4 v[106:109], v10, s[12:13]
	v_mul_u32_u24_sdwa v10, v33, s6 dst_sel:DWORD dst_unused:UNUSED_PAD src0_sel:WORD_0 src1_sel:DWORD
	v_lshrrev_b32_e32 v32, 19, v10
	v_mul_lo_u16_e32 v10, 10, v32
	v_sub_u16_e32 v33, v33, v10
	v_lshlrev_b32_e32 v10, 4, v33
	v_add_u32_e32 v81, 0x384, v73
	ds_read2_b32 v[122:123], v74 offset0:48 offset1:148
	ds_read2_b32 v[124:125], v68 offset0:152 offset1:252
	global_load_dwordx4 v[110:113], v10, s[12:13]
	v_mul_u32_u24_e32 v18, 0x78, v18
	v_mul_u32_u24_e32 v5, 0x78, v5
	s_waitcnt vmcnt(8) lgkmcnt(4)
	v_mul_f32_e32 v10, v118, v15
	v_fma_f32 v126, v61, v14, -v10
	v_mul_u32_u24_sdwa v10, v81, s6 dst_sel:DWORD dst_unused:UNUSED_PAD src0_sel:WORD_0 src1_sel:DWORD
	v_lshrrev_b32_e32 v34, 19, v10
	v_mul_lo_u16_e32 v10, 10, v34
	v_sub_u16_e32 v81, v81, v10
	v_lshlrev_b32_e32 v10, 4, v81
	global_load_dwordx4 v[114:117], v10, s[12:13]
	v_mul_f32_e32 v127, v61, v15
	v_fmac_f32_e32 v127, v118, v14
	v_mul_f32_e32 v128, v59, v17
	s_waitcnt vmcnt(8)
	v_mul_f32_e32 v14, v119, v83
	s_waitcnt lgkmcnt(3)
	v_mul_f32_e32 v10, v120, v17
	v_fmac_f32_e32 v128, v120, v16
	v_fma_f32 v120, v62, v82, -v14
	v_mul_f32_e32 v129, v62, v83
	ds_read2_b32 v[61:62], v69 offset0:120 offset1:220
	v_mul_f32_e32 v14, v121, v85
	v_fma_f32 v118, v59, v16, -v10
	v_fmac_f32_e32 v129, v119, v82
	v_fma_f32 v119, v60, v84, -v14
	v_mul_f32_e32 v130, v60, v85
	ds_read2_b32 v[59:60], v75 offset0:96 offset1:196
	s_waitcnt vmcnt(7) lgkmcnt(3)
	v_mul_f32_e32 v16, v122, v87
	v_fmac_f32_e32 v130, v121, v84
	v_fma_f32 v121, v47, v86, -v16
	v_mul_f32_e32 v87, v47, v87
	s_waitcnt lgkmcnt(2)
	v_mul_f32_e32 v16, v124, v89
	v_fmac_f32_e32 v87, v122, v86
	v_fma_f32 v86, v53, v88, -v16
	v_mul_f32_e32 v89, v53, v89
	ds_read2_b32 v[82:83], v70 offset0:64 offset1:164
	s_waitcnt vmcnt(6)
	v_mul_f32_e32 v16, v123, v91
	v_fmac_f32_e32 v89, v124, v88
	v_fma_f32 v88, v48, v90, -v16
	v_mul_f32_e32 v91, v48, v91
	ds_read2_b32 v[47:48], v71 offset0:40 offset1:140
	s_waitcnt vmcnt(5) lgkmcnt(3)
	v_mul_f32_e32 v84, v61, v95
	v_fmac_f32_e32 v91, v123, v90
	v_fma_f32 v122, v49, v94, -v84
	v_mul_f32_e32 v123, v49, v95
	s_waitcnt lgkmcnt(2)
	v_mul_f32_e32 v49, v59, v97
	v_mul_f32_e32 v16, v125, v93
	;; [unrolled: 1-line block ×3, first 2 shown]
	v_fma_f32 v124, v51, v96, -v49
	s_waitcnt vmcnt(4)
	v_mul_f32_e32 v49, v62, v99
	v_fmac_f32_e32 v93, v125, v92
	v_fma_f32 v125, v50, v98, -v49
	v_mul_f32_e32 v49, v60, v101
	v_fma_f32 v90, v54, v92, -v16
	ds_read2_b32 v[53:54], v77 offset0:8 offset1:108
	v_fma_f32 v132, v52, v100, -v49
	s_waitcnt vmcnt(3) lgkmcnt(2)
	v_mul_f32_e32 v49, v82, v103
	ds_read2_b32 v[84:85], v79 offset0:112 offset1:212
	v_fma_f32 v134, v55, v102, -v49
	s_waitcnt lgkmcnt(2)
	v_mul_f32_e32 v49, v47, v105
	v_mul_f32_e32 v55, v55, v103
	v_fma_f32 v103, v57, v104, -v49
	v_mul_f32_e32 v57, v57, v105
	v_fmac_f32_e32 v57, v47, v104
	s_waitcnt vmcnt(2)
	v_mul_f32_e32 v47, v83, v107
	v_fma_f32 v104, v56, v106, -v47
	v_mul_f32_e32 v56, v56, v107
	v_mul_f32_e32 v47, v48, v109
	v_fmac_f32_e32 v56, v83, v106
	v_fma_f32 v105, v58, v108, -v47
	v_mul_f32_e32 v106, v58, v109
	s_waitcnt vmcnt(1) lgkmcnt(1)
	v_mul_f32_e32 v47, v53, v111
	v_fmac_f32_e32 v106, v48, v108
	v_fma_f32 v107, v45, v110, -v47
	v_mul_f32_e32 v108, v45, v111
	s_waitcnt lgkmcnt(0)
	v_mul_f32_e32 v45, v84, v113
	v_fma_f32 v109, v63, v112, -v45
	v_fmac_f32_e32 v108, v53, v110
	v_mul_f32_e32 v110, v63, v113
	v_mul_f32_e32 v133, v52, v101
	v_mul_f32_e32 v51, v51, v97
	v_fmac_f32_e32 v55, v82, v102
	v_fmac_f32_e32 v110, v84, v112
	v_mul_f32_e32 v131, v50, v99
	v_fmac_f32_e32 v133, v60, v100
	v_fmac_f32_e32 v123, v61, v94
	;; [unrolled: 1-line block ×4, first 2 shown]
	ds_read2_b32 v[10:11], v78 offset0:144 offset1:244
	ds_read2_b32 v[14:15], v76 offset0:88 offset1:188
	;; [unrolled: 1-line block ×3, first 2 shown]
	s_waitcnt vmcnt(0)
	v_mul_f32_e32 v45, v54, v115
	v_fma_f32 v111, v46, v114, -v45
	v_mul_f32_e32 v45, v85, v117
	v_fma_f32 v113, v64, v116, -v45
	v_add_f32_e32 v45, v43, v126
	v_add_f32_e32 v101, v45, v118
	;; [unrolled: 1-line block ×3, first 2 shown]
	v_fma_f32 v97, -0.5, v45, v43
	v_sub_f32_e32 v43, v127, v128
	v_mov_b32_e32 v102, v97
	v_mul_f32_e32 v112, v46, v115
	v_fmac_f32_e32 v102, 0x3f5db3d7, v43
	v_fmac_f32_e32 v97, 0xbf5db3d7, v43
	v_add_f32_e32 v43, v12, v127
	v_fmac_f32_e32 v112, v54, v114
	v_mul_f32_e32 v114, v64, v117
	v_add_f32_e32 v64, v43, v128
	v_add_f32_e32 v43, v127, v128
	v_fma_f32 v63, -0.5, v43, v12
	v_sub_f32_e32 v12, v126, v118
	v_mov_b32_e32 v84, v63
	v_fmac_f32_e32 v84, 0xbf5db3d7, v12
	v_fmac_f32_e32 v63, 0x3f5db3d7, v12
	v_add_f32_e32 v12, v44, v120
	v_add_f32_e32 v99, v12, v119
	;; [unrolled: 1-line block ×3, first 2 shown]
	v_fmac_f32_e32 v44, -0.5, v12
	v_sub_f32_e32 v12, v129, v130
	v_mov_b32_e32 v100, v44
	v_fmac_f32_e32 v100, 0x3f5db3d7, v12
	v_fmac_f32_e32 v44, 0xbf5db3d7, v12
	v_add_f32_e32 v12, v13, v129
	v_add_f32_e32 v61, v12, v130
	;; [unrolled: 1-line block ×3, first 2 shown]
	v_fmac_f32_e32 v13, -0.5, v12
	v_sub_f32_e32 v12, v120, v119
	v_mov_b32_e32 v83, v13
	v_fmac_f32_e32 v83, 0xbf5db3d7, v12
	v_fmac_f32_e32 v13, 0x3f5db3d7, v12
	v_add_f32_e32 v12, v41, v121
	v_add_f32_e32 v96, v12, v86
	;; [unrolled: 1-line block ×3, first 2 shown]
	v_fma_f32 v92, -0.5, v12, v41
	v_sub_f32_e32 v12, v87, v89
	v_mov_b32_e32 v98, v92
	v_fmac_f32_e32 v98, 0x3f5db3d7, v12
	v_fmac_f32_e32 v92, 0xbf5db3d7, v12
	v_add_f32_e32 v12, v6, v87
	v_add_f32_e32 v60, v12, v89
	;; [unrolled: 1-line block ×3, first 2 shown]
	v_fma_f32 v59, -0.5, v12, v6
	v_sub_f32_e32 v6, v121, v86
	v_mov_b32_e32 v82, v59
	v_fmac_f32_e32 v82, 0xbf5db3d7, v6
	v_fmac_f32_e32 v59, 0x3f5db3d7, v6
	v_add_f32_e32 v6, v42, v88
	v_add_f32_e32 v94, v6, v90
	;; [unrolled: 1-line block ×3, first 2 shown]
	v_fmac_f32_e32 v42, -0.5, v6
	v_sub_f32_e32 v6, v91, v93
	v_mov_b32_e32 v95, v42
	v_fmac_f32_e32 v95, 0x3f5db3d7, v6
	v_fmac_f32_e32 v42, 0xbf5db3d7, v6
	v_add_f32_e32 v6, v7, v91
	v_add_f32_e32 v58, v6, v93
	;; [unrolled: 1-line block ×3, first 2 shown]
	v_fmac_f32_e32 v7, -0.5, v6
	v_sub_f32_e32 v6, v88, v90
	v_mov_b32_e32 v62, v7
	v_fmac_f32_e32 v62, 0xbf5db3d7, v6
	v_fmac_f32_e32 v7, 0x3f5db3d7, v6
	v_add_f32_e32 v6, v39, v122
	v_add_f32_e32 v91, v6, v124
	;; [unrolled: 1-line block ×3, first 2 shown]
	v_fma_f32 v87, -0.5, v6, v39
	v_sub_f32_e32 v6, v123, v51
	v_mov_b32_e32 v93, v87
	v_fmac_f32_e32 v93, 0x3f5db3d7, v6
	v_fmac_f32_e32 v87, 0xbf5db3d7, v6
	s_waitcnt lgkmcnt(2)
	v_add_f32_e32 v6, v10, v123
	v_add_f32_e32 v49, v6, v51
	;; [unrolled: 1-line block ×3, first 2 shown]
	v_fma_f32 v50, -0.5, v6, v10
	v_sub_f32_e32 v6, v122, v124
	v_mov_b32_e32 v52, v50
	v_fmac_f32_e32 v52, 0xbf5db3d7, v6
	v_fmac_f32_e32 v50, 0x3f5db3d7, v6
	v_add_f32_e32 v6, v40, v125
	v_add_f32_e32 v89, v6, v132
	v_add_f32_e32 v6, v125, v132
	v_fmac_f32_e32 v40, -0.5, v6
	v_sub_f32_e32 v6, v131, v133
	v_mov_b32_e32 v90, v40
	v_fmac_f32_e32 v90, 0x3f5db3d7, v6
	v_fmac_f32_e32 v40, 0xbf5db3d7, v6
	v_add_f32_e32 v6, v11, v131
	v_add_f32_e32 v45, v6, v133
	;; [unrolled: 1-line block ×3, first 2 shown]
	v_fmac_f32_e32 v11, -0.5, v6
	v_sub_f32_e32 v6, v125, v132
	v_mov_b32_e32 v46, v11
	v_fmac_f32_e32 v46, 0xbf5db3d7, v6
	v_fmac_f32_e32 v11, 0x3f5db3d7, v6
	v_add_f32_e32 v6, v37, v134
	v_add_f32_e32 v86, v6, v103
	;; [unrolled: 1-line block ×3, first 2 shown]
	v_fma_f32 v39, -0.5, v6, v37
	v_sub_f32_e32 v6, v55, v57
	v_mov_b32_e32 v88, v39
	v_fmac_f32_e32 v88, 0x3f5db3d7, v6
	v_fmac_f32_e32 v39, 0xbf5db3d7, v6
	s_waitcnt lgkmcnt(1)
	v_add_f32_e32 v6, v14, v55
	v_add_f32_e32 v47, v6, v57
	;; [unrolled: 1-line block ×3, first 2 shown]
	v_fma_f32 v14, -0.5, v6, v14
	v_sub_f32_e32 v6, v134, v103
	v_mov_b32_e32 v48, v14
	v_fmac_f32_e32 v48, 0xbf5db3d7, v6
	v_fmac_f32_e32 v14, 0x3f5db3d7, v6
	v_add_f32_e32 v6, v38, v104
	v_add_f32_e32 v43, v6, v105
	;; [unrolled: 1-line block ×3, first 2 shown]
	v_fmac_f32_e32 v38, -0.5, v6
	v_fmac_f32_e32 v114, v85, v116
	v_sub_f32_e32 v6, v56, v106
	v_mov_b32_e32 v85, v38
	v_fmac_f32_e32 v85, 0x3f5db3d7, v6
	v_fmac_f32_e32 v38, 0xbf5db3d7, v6
	v_add_f32_e32 v6, v15, v56
	v_add_f32_e32 v51, v6, v106
	;; [unrolled: 1-line block ×3, first 2 shown]
	v_fmac_f32_e32 v15, -0.5, v6
	v_sub_f32_e32 v6, v104, v105
	v_mov_b32_e32 v53, v15
	v_fmac_f32_e32 v53, 0xbf5db3d7, v6
	v_fmac_f32_e32 v15, 0x3f5db3d7, v6
	v_add_f32_e32 v6, v35, v107
	v_add_f32_e32 v37, v6, v109
	;; [unrolled: 1-line block ×3, first 2 shown]
	v_fma_f32 v6, -0.5, v6, v35
	v_sub_f32_e32 v10, v108, v110
	v_mov_b32_e32 v41, v6
	v_fmac_f32_e32 v41, 0x3f5db3d7, v10
	v_fmac_f32_e32 v6, 0xbf5db3d7, v10
	s_waitcnt lgkmcnt(0)
	v_add_f32_e32 v10, v16, v108
	v_add_f32_e32 v54, v10, v110
	;; [unrolled: 1-line block ×3, first 2 shown]
	v_fma_f32 v16, -0.5, v10, v16
	v_sub_f32_e32 v10, v107, v109
	v_mov_b32_e32 v55, v16
	v_add_f32_e32 v12, v111, v113
	v_fmac_f32_e32 v55, 0xbf5db3d7, v10
	v_fmac_f32_e32 v16, 0x3f5db3d7, v10
	v_add_f32_e32 v10, v36, v111
	v_fmac_f32_e32 v36, -0.5, v12
	v_sub_f32_e32 v12, v112, v114
	v_mov_b32_e32 v35, v36
	v_fmac_f32_e32 v35, 0x3f5db3d7, v12
	v_fmac_f32_e32 v36, 0xbf5db3d7, v12
	v_add_f32_e32 v12, v17, v112
	v_add_f32_e32 v56, v12, v114
	;; [unrolled: 1-line block ×3, first 2 shown]
	v_fmac_f32_e32 v17, -0.5, v12
	v_sub_f32_e32 v12, v111, v113
	v_mov_b32_e32 v57, v17
	v_fmac_f32_e32 v57, 0xbf5db3d7, v12
	v_fmac_f32_e32 v17, 0x3f5db3d7, v12
	v_mov_b32_e32 v12, 2
	v_lshlrev_b32_sdwa v19, v12, v19 dst_sel:DWORD dst_unused:UNUSED_PAD src0_sel:DWORD src1_sel:BYTE_0
	v_add3_u32 v103, 0, v18, v19
	v_lshlrev_b32_sdwa v9, v12, v9 dst_sel:DWORD dst_unused:UNUSED_PAD src0_sel:DWORD src1_sel:BYTE_0
	s_barrier
	ds_write2_b32 v103, v101, v102 offset1:10
	ds_write_b32 v103, v97 offset:80
	v_add3_u32 v97, 0, v5, v9
	v_mul_u32_u24_e32 v5, 0x78, v20
	v_lshlrev_b32_e32 v9, 2, v21
	ds_write2_b32 v97, v99, v100 offset1:10
	ds_write_b32 v97, v44 offset:80
	v_add3_u32 v44, 0, v5, v9
	v_mul_u32_u24_e32 v5, 0x78, v22
	v_lshlrev_b32_e32 v9, 2, v23
	;; [unrolled: 5-line block ×7, first 2 shown]
	ds_write2_b32 v86, v43, v85 offset1:10
	ds_write_b32 v86, v38 offset:80
	v_add3_u32 v85, 0, v5, v9
	ds_write2_b32 v85, v37, v41 offset1:10
	ds_write_b32 v85, v6 offset:80
	v_mul_u32_u24_e32 v5, 0x78, v34
	v_lshlrev_b32_e32 v6, 2, v81
	v_add_f32_e32 v10, v10, v113
	v_add3_u32 v81, 0, v5, v6
	s_movk_i32 s6, 0x89
	ds_write2_b32 v81, v10, v35 offset1:10
	ds_write_b32 v81, v36 offset:80
	s_waitcnt lgkmcnt(0)
	s_barrier
	ds_read2_b32 v[9:10], v0 offset1:100
	ds_read2_b32 v[5:6], v67 offset0:72 offset1:172
	ds_read2_b32 v[42:43], v76 offset0:88 offset1:188
	;; [unrolled: 1-line block ×14, first 2 shown]
	s_waitcnt lgkmcnt(0)
	s_barrier
	ds_write2_b32 v103, v64, v84 offset1:10
	ds_write_b32 v103, v63 offset:80
	ds_write2_b32 v97, v61, v83 offset1:10
	ds_write_b32 v97, v13 offset:80
	;; [unrolled: 2-line block ×10, first 2 shown]
	v_mul_lo_u16_sdwa v7, v73, s6 dst_sel:DWORD dst_unused:UNUSED_PAD src0_sel:BYTE_0 src1_sel:DWORD
	v_lshrrev_b16_e32 v14, 12, v7
	v_mul_lo_u16_e32 v7, 30, v14
	v_sub_u16_e32 v15, v73, v7
	v_mov_b32_e32 v7, 9
	v_mul_u32_u24_sdwa v11, v15, v7 dst_sel:DWORD dst_unused:UNUSED_PAD src0_sel:BYTE_0 src1_sel:DWORD
	v_lshlrev_b32_e32 v16, 3, v11
	s_waitcnt lgkmcnt(0)
	s_barrier
	global_load_dwordx4 v[44:47], v16, s[12:13] offset:160
	global_load_dwordx4 v[48:51], v16, s[12:13] offset:176
	;; [unrolled: 1-line block ×4, first 2 shown]
	v_mul_lo_u16_sdwa v11, v8, s6 dst_sel:DWORD dst_unused:UNUSED_PAD src0_sel:BYTE_0 src1_sel:DWORD
	v_lshrrev_b16_e32 v13, 12, v11
	v_mul_lo_u16_e32 v11, 30, v13
	v_sub_u16_e32 v11, v8, v11
	v_mul_u32_u24_sdwa v7, v11, v7 dst_sel:DWORD dst_unused:UNUSED_PAD src0_sel:BYTE_0 src1_sel:DWORD
	v_lshlrev_b32_e32 v64, 3, v7
	global_load_dwordx4 v[60:63], v64, s[12:13] offset:160
	global_load_dwordx4 v[81:84], v64, s[12:13] offset:176
	global_load_dwordx2 v[101:102], v16, s[12:13] offset:224
	global_load_dwordx4 v[85:88], v64, s[12:13] offset:192
	ds_read2_b32 v[7:8], v67 offset0:72 offset1:172
	ds_read2_b32 v[96:97], v76 offset0:88 offset1:188
	;; [unrolled: 1-line block ×9, first 2 shown]
	s_mov_b32 s6, 0x8889
	s_waitcnt vmcnt(7) lgkmcnt(8)
	v_mul_f32_e32 v16, v8, v45
	v_fma_f32 v16, v6, v44, -v16
	v_mul_f32_e32 v17, v6, v45
	s_waitcnt lgkmcnt(7)
	v_mul_f32_e32 v6, v96, v47
	v_fma_f32 v117, v42, v46, -v6
	v_mul_f32_e32 v118, v42, v47
	s_waitcnt vmcnt(6) lgkmcnt(6)
	v_mul_f32_e32 v6, v104, v49
	v_fmac_f32_e32 v17, v8, v44
	v_fmac_f32_e32 v118, v96, v46
	v_fma_f32 v42, v31, v48, -v6
	global_load_dwordx4 v[44:47], v64, s[12:13] offset:208
	s_waitcnt lgkmcnt(5)
	v_mul_f32_e32 v6, v105, v51
	v_fma_f32 v119, v40, v50, -v6
	s_waitcnt vmcnt(6) lgkmcnt(4)
	v_mul_f32_e32 v6, v108, v53
	v_mul_f32_e32 v120, v40, v51
	v_fma_f32 v40, v27, v52, -v6
	v_mul_u32_u24_sdwa v6, v80, s6 dst_sel:DWORD dst_unused:UNUSED_PAD src0_sel:WORD_0 src1_sel:DWORD
	v_lshrrev_b32_e32 v6, 20, v6
	v_mul_lo_u16_e32 v8, 30, v6
	v_mul_f32_e32 v31, v31, v49
	v_sub_u16_e32 v8, v80, v8
	v_fmac_f32_e32 v31, v104, v48
	v_mul_u32_u24_e32 v48, 9, v8
	v_fmac_f32_e32 v120, v105, v50
	global_load_dwordx2 v[104:105], v64, s[12:13] offset:224
	v_lshlrev_b32_e32 v64, 3, v48
	global_load_dwordx4 v[48:51], v64, s[12:13] offset:176
	global_load_dwordx4 v[89:92], v64, s[12:13] offset:160
	v_mul_f32_e32 v121, v27, v53
	s_waitcnt lgkmcnt(3)
	v_mul_f32_e32 v27, v109, v55
	v_fmac_f32_e32 v121, v108, v52
	v_fma_f32 v108, v38, v54, -v27
	v_mul_f32_e32 v122, v38, v55
	s_waitcnt vmcnt(8) lgkmcnt(2)
	v_mul_f32_e32 v27, v112, v57
	v_fmac_f32_e32 v122, v109, v54
	v_fma_f32 v109, v23, v56, -v27
	v_mul_f32_e32 v123, v23, v57
	s_waitcnt lgkmcnt(1)
	v_mul_f32_e32 v23, v113, v59
	v_fmac_f32_e32 v123, v112, v56
	v_fma_f32 v112, v36, v58, -v23
	s_waitcnt vmcnt(7) lgkmcnt(0)
	v_mul_f32_e32 v23, v115, v61
	global_load_dwordx4 v[93:96], v64, s[12:13] offset:192
	v_mul_f32_e32 v124, v36, v59
	v_fma_f32 v36, v34, v60, -v23
	v_mul_f32_e32 v34, v34, v61
	v_fmac_f32_e32 v34, v115, v60
	v_mul_f32_e32 v115, v43, v63
	v_mul_f32_e32 v23, v97, v63
	v_fmac_f32_e32 v115, v97, v62
	global_load_dwordx4 v[97:100], v64, s[12:13] offset:208
	global_load_dwordx2 v[52:53], v64, s[12:13] offset:224
	ds_read2_b32 v[56:57], v65 offset0:104 offset1:204
	v_fmac_f32_e32 v124, v113, v58
	ds_read2_b32 v[58:59], v70 offset0:64 offset1:164
	v_fma_f32 v113, v43, v62, -v23
	s_waitcnt vmcnt(9)
	v_mul_f32_e32 v23, v106, v84
	v_fma_f32 v125, v41, v83, -v23
	v_mul_f32_e32 v126, v41, v84
	s_waitcnt lgkmcnt(1)
	v_mul_f32_e32 v23, v56, v82
	v_fmac_f32_e32 v126, v106, v83
	v_fma_f32 v106, v32, v81, -v23
	s_waitcnt vmcnt(7)
	v_mul_f32_e32 v23, v110, v88
	v_mul_f32_e32 v32, v32, v82
	v_fma_f32 v82, v39, v87, -v23
	v_mul_f32_e32 v127, v39, v88
	s_waitcnt lgkmcnt(0)
	v_mul_f32_e32 v23, v58, v86
	v_fmac_f32_e32 v127, v110, v87
	v_fma_f32 v110, v28, v85, -v23
	v_mul_f32_e32 v128, v28, v86
	ds_read2_b32 v[27:28], v68 offset0:152 offset1:252
	ds_read2_b32 v[63:64], v71 offset0:40 offset1:140
	v_fmac_f32_e32 v128, v58, v85
	v_fmac_f32_e32 v32, v56, v81
	ds_read2_b32 v[38:39], v0 offset1:100
	v_mul_u32_u24_e32 v6, 0x4b0, v6
	s_movk_i32 s6, 0x2000
	s_waitcnt vmcnt(6)
	v_mul_f32_e32 v23, v114, v47
	v_fma_f32 v129, v37, v46, -v23
	v_mul_f32_e32 v37, v37, v47
	s_waitcnt lgkmcnt(2)
	v_mul_f32_e32 v23, v27, v45
	v_fmac_f32_e32 v37, v114, v46
	v_fma_f32 v46, v24, v44, -v23
	v_mul_f32_e32 v45, v24, v45
	ds_read2_b32 v[23:24], v79 offset0:112 offset1:212
	v_fmac_f32_e32 v45, v27, v44
	s_waitcnt lgkmcnt(2)
	v_mul_f32_e32 v27, v64, v102
	v_fma_f32 v27, v19, v101, -v27
	v_mul_f32_e32 v19, v19, v102
	v_fmac_f32_e32 v19, v64, v101
	v_sub_f32_e32 v43, v109, v27
	s_waitcnt vmcnt(5) lgkmcnt(0)
	v_mul_f32_e32 v41, v23, v105
	v_fma_f32 v47, v20, v104, -v41
	v_mul_f32_e32 v101, v20, v105
	s_waitcnt vmcnt(3)
	v_mul_f32_e32 v20, v116, v90
	v_fma_f32 v54, v35, v89, -v20
	v_mul_f32_e32 v20, v103, v92
	v_fma_f32 v84, v30, v91, -v20
	;; [unrolled: 2-line block ×4, first 2 shown]
	v_mul_f32_e32 v56, v33, v49
	v_fmac_f32_e32 v56, v57, v48
	v_fmac_f32_e32 v101, v23, v104
	v_sub_f32_e32 v23, v117, v119
	v_mul_f32_e32 v81, v26, v51
	s_waitcnt vmcnt(2)
	v_mul_f32_e32 v20, v59, v94
	v_fma_f32 v61, v29, v93, -v20
	v_mul_f32_e32 v20, v111, v96
	v_fma_f32 v87, v22, v95, -v20
	v_mul_f32_e32 v57, v29, v94
	v_fmac_f32_e32 v57, v59, v93
	v_mul_f32_e32 v83, v22, v96
	s_waitcnt vmcnt(1)
	v_mul_f32_e32 v20, v28, v98
	v_fma_f32 v62, v25, v97, -v20
	v_mul_f32_e32 v20, v63, v100
	v_fma_f32 v88, v18, v99, -v20
	v_add_f32_e32 v20, v119, v108
	s_waitcnt vmcnt(0)
	v_mul_f32_e32 v59, v21, v53
	v_fma_f32 v22, -0.5, v20, v9
	v_mul_f32_e32 v86, v18, v100
	v_mul_f32_e32 v18, v24, v53
	v_fmac_f32_e32 v59, v24, v52
	v_sub_f32_e32 v20, v118, v124
	v_mov_b32_e32 v24, v22
	v_mul_f32_e32 v58, v25, v98
	v_fmac_f32_e32 v86, v63, v99
	v_fma_f32 v63, v21, v52, -v18
	v_fmac_f32_e32 v24, 0x3f737871, v20
	v_sub_f32_e32 v21, v120, v122
	v_sub_f32_e32 v25, v112, v108
	v_fmac_f32_e32 v22, 0xbf737871, v20
	v_fmac_f32_e32 v24, 0x3f167918, v21
	v_add_f32_e32 v23, v23, v25
	v_fmac_f32_e32 v22, 0xbf167918, v21
	v_fmac_f32_e32 v24, 0x3e9e377a, v23
	;; [unrolled: 1-line block ×3, first 2 shown]
	v_add_f32_e32 v23, v117, v112
	v_fma_f32 v26, -0.5, v23, v9
	v_fmac_f32_e32 v58, v28, v97
	v_mov_b32_e32 v28, v26
	v_add_f32_e32 v18, v9, v117
	v_fmac_f32_e32 v28, 0xbf737871, v21
	v_sub_f32_e32 v9, v119, v117
	v_sub_f32_e32 v23, v108, v112
	v_fmac_f32_e32 v26, 0x3f737871, v21
	v_fmac_f32_e32 v28, 0x3f167918, v20
	v_add_f32_e32 v9, v9, v23
	v_fmac_f32_e32 v26, 0xbf167918, v20
	v_fmac_f32_e32 v28, 0x3e9e377a, v9
	;; [unrolled: 1-line block ×3, first 2 shown]
	v_add_f32_e32 v9, v38, v118
	v_add_f32_e32 v9, v9, v120
	;; [unrolled: 1-line block ×5, first 2 shown]
	v_fma_f32 v33, -0.5, v9, v38
	v_mul_f32_e32 v55, v35, v90
	v_sub_f32_e32 v9, v117, v112
	v_mov_b32_e32 v35, v33
	v_fmac_f32_e32 v35, 0xbf737871, v9
	v_sub_f32_e32 v20, v119, v108
	v_sub_f32_e32 v21, v118, v120
	;; [unrolled: 1-line block ×3, first 2 shown]
	v_fmac_f32_e32 v33, 0x3f737871, v9
	v_fmac_f32_e32 v35, 0xbf167918, v20
	v_add_f32_e32 v21, v21, v23
	v_fmac_f32_e32 v33, 0x3f167918, v20
	v_fmac_f32_e32 v35, 0x3e9e377a, v21
	;; [unrolled: 1-line block ×3, first 2 shown]
	v_add_f32_e32 v21, v118, v124
	v_fma_f32 v38, -0.5, v21, v38
	v_mov_b32_e32 v48, v38
	v_fmac_f32_e32 v48, 0x3f737871, v20
	v_fmac_f32_e32 v38, 0xbf737871, v20
	;; [unrolled: 1-line block ×4, first 2 shown]
	v_add_f32_e32 v9, v16, v42
	v_add_f32_e32 v9, v9, v40
	;; [unrolled: 1-line block ×5, first 2 shown]
	v_sub_f32_e32 v21, v120, v118
	v_sub_f32_e32 v23, v122, v124
	v_fma_f32 v25, -0.5, v9, v16
	v_mul_f32_e32 v64, v30, v92
	v_add_f32_e32 v21, v21, v23
	v_sub_f32_e32 v9, v31, v19
	v_mov_b32_e32 v30, v25
	v_fmac_f32_e32 v48, 0x3e9e377a, v21
	v_fmac_f32_e32 v38, 0x3e9e377a, v21
	v_fmac_f32_e32 v30, 0x3f737871, v9
	v_sub_f32_e32 v21, v121, v123
	v_sub_f32_e32 v23, v42, v40
	;; [unrolled: 1-line block ×3, first 2 shown]
	v_fmac_f32_e32 v25, 0xbf737871, v9
	v_fmac_f32_e32 v30, 0x3f167918, v21
	v_add_f32_e32 v23, v23, v41
	v_fmac_f32_e32 v25, 0xbf167918, v21
	v_fmac_f32_e32 v30, 0x3e9e377a, v23
	;; [unrolled: 1-line block ×3, first 2 shown]
	v_add_f32_e32 v23, v42, v27
	v_fmac_f32_e32 v16, -0.5, v23
	v_mov_b32_e32 v41, v16
	v_fmac_f32_e32 v41, 0xbf737871, v21
	v_fmac_f32_e32 v16, 0x3f737871, v21
	;; [unrolled: 1-line block ×4, first 2 shown]
	v_add_f32_e32 v9, v17, v31
	v_add_f32_e32 v9, v9, v121
	;; [unrolled: 1-line block ×5, first 2 shown]
	v_fmac_f32_e32 v81, v107, v50
	v_sub_f32_e32 v23, v40, v42
	v_fma_f32 v50, -0.5, v9, v17
	v_add_f32_e32 v23, v23, v43
	v_sub_f32_e32 v9, v42, v27
	v_mov_b32_e32 v27, v50
	v_fmac_f32_e32 v41, 0x3e9e377a, v23
	v_fmac_f32_e32 v16, 0x3e9e377a, v23
	;; [unrolled: 1-line block ×3, first 2 shown]
	v_sub_f32_e32 v21, v40, v109
	v_sub_f32_e32 v23, v31, v121
	;; [unrolled: 1-line block ×3, first 2 shown]
	v_fmac_f32_e32 v50, 0x3f737871, v9
	v_fmac_f32_e32 v27, 0xbf167918, v21
	v_add_f32_e32 v23, v23, v40
	v_fmac_f32_e32 v50, 0x3f167918, v21
	v_fmac_f32_e32 v27, 0x3e9e377a, v23
	;; [unrolled: 1-line block ×3, first 2 shown]
	v_add_f32_e32 v23, v31, v19
	v_fmac_f32_e32 v17, -0.5, v23
	v_mov_b32_e32 v40, v17
	v_sub_f32_e32 v23, v121, v31
	v_sub_f32_e32 v19, v123, v19
	v_fmac_f32_e32 v17, 0xbf737871, v21
	v_fmac_f32_e32 v40, 0x3f737871, v21
	v_add_f32_e32 v19, v23, v19
	v_fmac_f32_e32 v17, 0x3f167918, v9
	v_fmac_f32_e32 v40, 0xbf167918, v9
	;; [unrolled: 1-line block ×3, first 2 shown]
	v_mul_f32_e32 v9, 0x3e9e377a, v16
	v_fma_f32 v51, v17, s2, -v9
	v_mul_f32_e32 v9, 0x3f4f1bbd, v25
	v_fmac_f32_e32 v55, v116, v89
	v_fmac_f32_e32 v64, v103, v91
	v_fmac_f32_e32 v40, 0x3e9e377a, v19
	v_fma_f32 v89, v50, s3, -v9
	v_mul_f32_e32 v91, 0xbf737871, v41
	v_mul_f32_e32 v17, 0x3e9e377a, v17
	v_add_f32_e32 v18, v18, v119
	v_mul_f32_e32 v31, 0x3f737871, v40
	v_add_f32_e32 v9, v22, v89
	v_fmac_f32_e32 v91, 0x3e9e377a, v40
	v_fma_f32 v40, v16, s4, -v17
	v_sub_f32_e32 v17, v22, v89
	v_add_f32_e32 v22, v10, v113
	v_add_f32_e32 v18, v18, v108
	v_mul_f32_e32 v19, 0x3f167918, v27
	v_add_f32_e32 v22, v22, v125
	v_add_f32_e32 v18, v18, v112
	v_fmac_f32_e32 v19, 0x3f4f1bbd, v30
	v_add_f32_e32 v22, v22, v82
	v_add_f32_e32 v52, v18, v20
	;; [unrolled: 1-line block ×3, first 2 shown]
	v_mul_f32_e32 v16, 0x3f4f1bbd, v50
	v_sub_f32_e32 v20, v18, v20
	v_sub_f32_e32 v18, v24, v19
	v_add_f32_e32 v24, v22, v129
	v_add_f32_e32 v22, v125, v82
	;; [unrolled: 1-line block ×3, first 2 shown]
	v_mul_f32_e32 v90, 0xbf167918, v30
	v_add_f32_e32 v42, v38, v40
	v_fma_f32 v50, v25, s5, -v16
	v_sub_f32_e32 v16, v26, v51
	v_sub_f32_e32 v26, v38, v40
	v_fma_f32 v38, -0.5, v22, v10
	v_fmac_f32_e32 v31, 0x3e9e377a, v41
	v_fmac_f32_e32 v90, 0x3f4f1bbd, v27
	v_sub_f32_e32 v22, v115, v37
	v_mov_b32_e32 v40, v38
	v_add_f32_e32 v21, v28, v31
	v_add_f32_e32 v44, v35, v90
	;; [unrolled: 1-line block ×3, first 2 shown]
	v_sub_f32_e32 v19, v28, v31
	v_sub_f32_e32 v27, v35, v90
	;; [unrolled: 1-line block ×3, first 2 shown]
	v_fmac_f32_e32 v40, 0x3f737871, v22
	v_sub_f32_e32 v31, v126, v127
	v_sub_f32_e32 v33, v113, v125
	;; [unrolled: 1-line block ×3, first 2 shown]
	v_fmac_f32_e32 v38, 0xbf737871, v22
	v_fmac_f32_e32 v40, 0x3f167918, v31
	v_add_f32_e32 v33, v33, v35
	v_fmac_f32_e32 v38, 0xbf167918, v31
	v_fmac_f32_e32 v40, 0x3e9e377a, v33
	;; [unrolled: 1-line block ×3, first 2 shown]
	v_add_f32_e32 v33, v113, v129
	v_fmac_f32_e32 v10, -0.5, v33
	v_mov_b32_e32 v89, v10
	v_fmac_f32_e32 v89, 0xbf737871, v31
	v_fmac_f32_e32 v10, 0x3f737871, v31
	;; [unrolled: 1-line block ×4, first 2 shown]
	v_add_f32_e32 v22, v39, v115
	v_add_f32_e32 v22, v22, v126
	;; [unrolled: 1-line block ×7, first 2 shown]
	v_sub_f32_e32 v30, v29, v49
	v_sub_f32_e32 v29, v48, v91
	v_sub_f32_e32 v33, v125, v113
	v_sub_f32_e32 v35, v82, v129
	v_fma_f32 v91, -0.5, v22, v39
	v_add_f32_e32 v33, v33, v35
	v_sub_f32_e32 v22, v113, v129
	v_mov_b32_e32 v92, v91
	v_fmac_f32_e32 v89, 0x3e9e377a, v33
	v_fmac_f32_e32 v10, 0x3e9e377a, v33
	;; [unrolled: 1-line block ×3, first 2 shown]
	v_sub_f32_e32 v31, v125, v82
	v_sub_f32_e32 v33, v115, v126
	;; [unrolled: 1-line block ×3, first 2 shown]
	v_fmac_f32_e32 v91, 0x3f737871, v22
	v_fmac_f32_e32 v92, 0xbf167918, v31
	v_add_f32_e32 v33, v33, v35
	v_fmac_f32_e32 v91, 0x3f167918, v31
	v_fmac_f32_e32 v92, 0x3e9e377a, v33
	v_fmac_f32_e32 v91, 0x3e9e377a, v33
	v_add_f32_e32 v33, v115, v37
	v_fmac_f32_e32 v39, -0.5, v33
	v_mov_b32_e32 v82, v39
	v_fmac_f32_e32 v82, 0x3f737871, v31
	v_fmac_f32_e32 v39, 0xbf737871, v31
	;; [unrolled: 1-line block ×4, first 2 shown]
	v_add_f32_e32 v22, v36, v106
	v_add_f32_e32 v22, v22, v110
	;; [unrolled: 1-line block ×3, first 2 shown]
	v_sub_f32_e32 v33, v126, v115
	v_sub_f32_e32 v35, v127, v37
	v_add_f32_e32 v37, v22, v47
	v_add_f32_e32 v22, v110, v46
	;; [unrolled: 1-line block ×3, first 2 shown]
	v_fma_f32 v35, -0.5, v22, v36
	v_fmac_f32_e32 v82, 0x3e9e377a, v33
	v_fmac_f32_e32 v39, 0x3e9e377a, v33
	v_sub_f32_e32 v22, v32, v101
	v_mov_b32_e32 v33, v35
	v_fmac_f32_e32 v33, 0x3f737871, v22
	v_sub_f32_e32 v31, v128, v45
	v_sub_f32_e32 v48, v106, v110
	;; [unrolled: 1-line block ×3, first 2 shown]
	v_fmac_f32_e32 v35, 0xbf737871, v22
	v_fmac_f32_e32 v33, 0x3f167918, v31
	v_add_f32_e32 v48, v48, v49
	v_fmac_f32_e32 v35, 0xbf167918, v31
	v_fmac_f32_e32 v33, 0x3e9e377a, v48
	;; [unrolled: 1-line block ×3, first 2 shown]
	v_add_f32_e32 v48, v106, v47
	v_fmac_f32_e32 v36, -0.5, v48
	v_mov_b32_e32 v93, v36
	v_fmac_f32_e32 v93, 0xbf737871, v31
	v_fmac_f32_e32 v36, 0x3f737871, v31
	v_fmac_f32_e32 v93, 0x3f167918, v22
	v_fmac_f32_e32 v36, 0xbf167918, v22
	v_add_f32_e32 v22, v34, v32
	v_add_f32_e32 v22, v22, v128
	;; [unrolled: 1-line block ×5, first 2 shown]
	v_fmac_f32_e32 v83, v111, v95
	v_sub_f32_e32 v48, v110, v106
	v_sub_f32_e32 v49, v46, v47
	v_fma_f32 v95, -0.5, v22, v34
	v_add_f32_e32 v48, v48, v49
	v_sub_f32_e32 v22, v106, v47
	v_mov_b32_e32 v47, v95
	v_fmac_f32_e32 v93, 0x3e9e377a, v48
	v_fmac_f32_e32 v36, 0x3e9e377a, v48
	;; [unrolled: 1-line block ×3, first 2 shown]
	v_sub_f32_e32 v31, v110, v46
	v_sub_f32_e32 v46, v32, v128
	;; [unrolled: 1-line block ×3, first 2 shown]
	v_fmac_f32_e32 v95, 0x3f737871, v22
	v_fmac_f32_e32 v47, 0xbf167918, v31
	v_add_f32_e32 v46, v46, v48
	v_fmac_f32_e32 v95, 0x3f167918, v31
	v_fmac_f32_e32 v47, 0x3e9e377a, v46
	;; [unrolled: 1-line block ×3, first 2 shown]
	v_add_f32_e32 v46, v32, v101
	v_fmac_f32_e32 v34, -0.5, v46
	v_mov_b32_e32 v46, v34
	v_fmac_f32_e32 v46, 0x3f737871, v31
	v_sub_f32_e32 v32, v128, v32
	v_sub_f32_e32 v45, v45, v101
	v_fmac_f32_e32 v46, 0xbf167918, v22
	v_add_f32_e32 v32, v32, v45
	v_fmac_f32_e32 v34, 0xbf737871, v31
	v_fmac_f32_e32 v46, 0x3e9e377a, v32
	;; [unrolled: 1-line block ×4, first 2 shown]
	v_mul_f32_e32 v96, 0x3f737871, v46
	v_mul_f32_e32 v22, 0x3e9e377a, v36
	v_fmac_f32_e32 v96, 0x3e9e377a, v93
	v_fma_f32 v97, v34, s2, -v22
	v_mul_f32_e32 v93, 0xbf737871, v93
	v_mul_f32_e32 v34, 0x3e9e377a, v34
	;; [unrolled: 1-line block ×3, first 2 shown]
	v_add_f32_e32 v48, v89, v96
	v_mul_f32_e32 v22, 0x3f4f1bbd, v35
	v_fmac_f32_e32 v93, 0x3e9e377a, v46
	v_fma_f32 v100, v36, s4, -v34
	v_mul_f32_e32 v36, 0x3f4f1bbd, v95
	v_sub_f32_e32 v46, v89, v96
	v_add_f32_e32 v89, v85, v87
	v_fmac_f32_e32 v45, 0x3f4f1bbd, v33
	v_fma_f32 v98, v95, s3, -v22
	v_mul_f32_e32 v99, 0xbf167918, v33
	v_fma_f32 v95, v35, s5, -v36
	v_fma_f32 v89, -0.5, v89, v5
	v_add_f32_e32 v51, v40, v45
	v_add_f32_e32 v31, v90, v94
	v_fmac_f32_e32 v99, 0x3f4f1bbd, v47
	v_add_f32_e32 v35, v91, v95
	v_sub_f32_e32 v45, v40, v45
	v_sub_f32_e32 v36, v90, v94
	;; [unrolled: 1-line block ×4, first 2 shown]
	v_mov_b32_e32 v91, v89
	v_add_f32_e32 v50, v24, v37
	v_add_f32_e32 v22, v38, v98
	;; [unrolled: 1-line block ×4, first 2 shown]
	v_sub_f32_e32 v47, v24, v37
	v_sub_f32_e32 v24, v38, v98
	;; [unrolled: 1-line block ×4, first 2 shown]
	v_fmac_f32_e32 v91, 0x3f737871, v90
	v_sub_f32_e32 v92, v81, v83
	v_sub_f32_e32 v93, v84, v85
	;; [unrolled: 1-line block ×3, first 2 shown]
	v_fmac_f32_e32 v89, 0xbf737871, v90
	v_fmac_f32_e32 v91, 0x3f167918, v92
	v_add_f32_e32 v93, v93, v94
	v_fmac_f32_e32 v89, 0xbf167918, v92
	v_fmac_f32_e32 v91, 0x3e9e377a, v93
	;; [unrolled: 1-line block ×3, first 2 shown]
	v_add_f32_e32 v93, v84, v88
	v_add_f32_e32 v82, v5, v84
	v_fmac_f32_e32 v5, -0.5, v93
	v_mov_b32_e32 v93, v5
	v_fmac_f32_e32 v93, 0xbf737871, v92
	v_sub_f32_e32 v94, v85, v84
	v_sub_f32_e32 v95, v87, v88
	v_fmac_f32_e32 v5, 0x3f737871, v92
	v_add_f32_e32 v92, v81, v83
	v_add_f32_e32 v82, v82, v85
	v_fmac_f32_e32 v93, 0x3f167918, v90
	v_add_f32_e32 v94, v94, v95
	v_fmac_f32_e32 v5, 0xbf167918, v90
	v_fma_f32 v92, -0.5, v92, v7
	v_add_f32_e32 v82, v82, v87
	v_fmac_f32_e32 v93, 0x3e9e377a, v94
	v_fmac_f32_e32 v5, 0x3e9e377a, v94
	v_sub_f32_e32 v84, v84, v88
	v_mov_b32_e32 v94, v92
	v_add_f32_e32 v82, v82, v88
	v_fmac_f32_e32 v94, 0xbf737871, v84
	v_sub_f32_e32 v85, v85, v87
	v_sub_f32_e32 v87, v64, v81
	;; [unrolled: 1-line block ×3, first 2 shown]
	v_fmac_f32_e32 v92, 0x3f737871, v84
	v_fmac_f32_e32 v94, 0xbf167918, v85
	v_add_f32_e32 v87, v87, v88
	v_fmac_f32_e32 v92, 0x3f167918, v85
	v_add_f32_e32 v90, v7, v64
	v_fmac_f32_e32 v94, 0x3e9e377a, v87
	v_fmac_f32_e32 v92, 0x3e9e377a, v87
	v_add_f32_e32 v87, v64, v86
	v_add_f32_e32 v90, v90, v81
	v_fmac_f32_e32 v7, -0.5, v87
	v_sub_f32_e32 v64, v81, v64
	v_sub_f32_e32 v81, v83, v86
	v_mov_b32_e32 v95, v7
	v_add_f32_e32 v64, v64, v81
	v_add_f32_e32 v81, v61, v62
	v_fmac_f32_e32 v95, 0x3f737871, v85
	v_fmac_f32_e32 v7, 0xbf737871, v85
	v_fma_f32 v81, -0.5, v81, v54
	v_add_f32_e32 v90, v90, v83
	v_fmac_f32_e32 v95, 0xbf167918, v84
	v_fmac_f32_e32 v7, 0x3f167918, v84
	v_sub_f32_e32 v83, v56, v59
	v_mov_b32_e32 v84, v81
	v_add_f32_e32 v90, v90, v86
	v_fmac_f32_e32 v84, 0x3f737871, v83
	v_sub_f32_e32 v85, v57, v58
	v_sub_f32_e32 v86, v60, v61
	;; [unrolled: 1-line block ×3, first 2 shown]
	v_fmac_f32_e32 v81, 0xbf737871, v83
	v_fmac_f32_e32 v84, 0x3f167918, v85
	v_add_f32_e32 v86, v86, v87
	v_fmac_f32_e32 v81, 0xbf167918, v85
	v_fmac_f32_e32 v84, 0x3e9e377a, v86
	;; [unrolled: 1-line block ×3, first 2 shown]
	v_add_f32_e32 v86, v60, v63
	v_fmac_f32_e32 v95, 0x3e9e377a, v64
	v_fmac_f32_e32 v7, 0x3e9e377a, v64
	v_add_f32_e32 v64, v54, v60
	v_fmac_f32_e32 v54, -0.5, v86
	v_mov_b32_e32 v96, v54
	v_add_f32_e32 v64, v64, v61
	v_fmac_f32_e32 v96, 0xbf737871, v85
	v_fmac_f32_e32 v54, 0x3f737871, v85
	v_add_f32_e32 v85, v57, v58
	v_add_f32_e32 v64, v64, v62
	v_sub_f32_e32 v86, v61, v60
	v_sub_f32_e32 v87, v62, v63
	v_fma_f32 v85, -0.5, v85, v55
	v_add_f32_e32 v64, v64, v63
	v_fmac_f32_e32 v96, 0x3f167918, v83
	v_add_f32_e32 v86, v86, v87
	v_fmac_f32_e32 v54, 0xbf167918, v83
	v_sub_f32_e32 v60, v60, v63
	v_mov_b32_e32 v63, v85
	v_fmac_f32_e32 v96, 0x3e9e377a, v86
	v_fmac_f32_e32 v54, 0x3e9e377a, v86
	v_fmac_f32_e32 v63, 0xbf737871, v60
	v_sub_f32_e32 v61, v61, v62
	v_sub_f32_e32 v62, v56, v57
	;; [unrolled: 1-line block ×3, first 2 shown]
	v_fmac_f32_e32 v85, 0x3f737871, v60
	v_fmac_f32_e32 v63, 0xbf167918, v61
	v_add_f32_e32 v62, v62, v86
	v_fmac_f32_e32 v85, 0x3f167918, v61
	v_fmac_f32_e32 v63, 0x3e9e377a, v62
	v_fmac_f32_e32 v85, 0x3e9e377a, v62
	v_add_f32_e32 v62, v56, v59
	v_add_f32_e32 v83, v55, v56
	v_fmac_f32_e32 v55, -0.5, v62
	v_mov_b32_e32 v62, v55
	v_add_f32_e32 v83, v83, v57
	v_fmac_f32_e32 v62, 0x3f737871, v61
	v_sub_f32_e32 v56, v57, v56
	v_sub_f32_e32 v57, v58, v59
	v_fmac_f32_e32 v55, 0xbf737871, v61
	v_fmac_f32_e32 v62, 0xbf167918, v60
	v_add_f32_e32 v56, v56, v57
	v_fmac_f32_e32 v55, 0x3f167918, v60
	v_fmac_f32_e32 v62, 0x3e9e377a, v56
	;; [unrolled: 1-line block ×3, first 2 shown]
	v_mul_f32_e32 v56, 0x3e9e377a, v54
	v_add_f32_e32 v83, v83, v58
	v_mul_f32_e32 v58, 0x3f167918, v63
	v_fma_f32 v98, v55, s2, -v56
	v_mul_f32_e32 v55, 0x3e9e377a, v55
	v_add_f32_e32 v34, v39, v100
	v_sub_f32_e32 v39, v39, v100
	v_add_f32_e32 v83, v83, v59
	v_fmac_f32_e32 v58, 0x3f4f1bbd, v84
	v_mul_f32_e32 v56, 0x3f4f1bbd, v81
	v_mul_f32_e32 v84, 0xbf167918, v84
	v_fma_f32 v100, v54, s4, -v55
	v_mul_f32_e32 v54, 0x3f4f1bbd, v85
	v_add_f32_e32 v86, v82, v64
	v_fma_f32 v99, v85, s3, -v56
	v_add_f32_e32 v60, v90, v83
	v_fmac_f32_e32 v84, 0x3f4f1bbd, v63
	v_add_f32_e32 v55, v7, v100
	v_fma_f32 v85, v81, s5, -v54
	v_sub_f32_e32 v59, v82, v64
	v_sub_f32_e32 v64, v90, v83
	;; [unrolled: 1-line block ×3, first 2 shown]
	v_mul_u32_u24_e32 v7, 0x4b0, v14
	v_lshlrev_b32_sdwa v14, v12, v15 dst_sel:DWORD dst_unused:UNUSED_PAD src0_sel:DWORD src1_sel:BYTE_0
	v_add_f32_e32 v61, v94, v84
	v_add_f32_e32 v63, v92, v85
	v_sub_f32_e32 v81, v94, v84
	v_sub_f32_e32 v84, v92, v85
	v_add3_u32 v85, 0, v7, v14
	s_barrier
	ds_write2_b32 v85, v52, v53 offset1:30
	ds_write2_b32 v85, v21, v23 offset0:60 offset1:90
	ds_write2_b32 v85, v9, v20 offset0:120 offset1:150
	;; [unrolled: 1-line block ×3, first 2 shown]
	v_mul_u32_u24_e32 v7, 0x4b0, v13
	v_lshlrev_b32_sdwa v9, v12, v11 dst_sel:DWORD dst_unused:UNUSED_PAD src0_sel:DWORD src1_sel:BYTE_0
	v_add_f32_e32 v49, v10, v97
	v_sub_f32_e32 v10, v10, v97
	v_add_f32_e32 v88, v91, v58
	v_mul_f32_e32 v97, 0x3f737871, v62
	v_sub_f32_e32 v54, v91, v58
	v_add_u32_e32 v91, 0x200, v85
	v_add3_u32 v90, 0, v7, v9
	v_lshlrev_b32_e32 v7, 2, v8
	v_fmac_f32_e32 v97, 0x3e9e377a, v96
	ds_write2_b32 v91, v16, v17 offset0:112 offset1:142
	ds_write2_b32 v90, v50, v51 offset1:30
	ds_write2_b32 v90, v48, v49 offset0:60 offset1:90
	ds_write2_b32 v90, v22, v47 offset0:120 offset1:150
	;; [unrolled: 1-line block ×3, first 2 shown]
	v_add3_u32 v48, 0, v6, v7
	v_add_f32_e32 v57, v93, v97
	v_add_f32_e32 v87, v5, v98
	;; [unrolled: 1-line block ×3, first 2 shown]
	v_sub_f32_e32 v58, v93, v97
	v_sub_f32_e32 v5, v5, v98
	v_sub_f32_e32 v89, v89, v99
	v_add_u32_e32 v45, 0x200, v90
	v_add_u32_e32 v49, 0x200, v48
	ds_write2_b32 v45, v10, v24 offset0:112 offset1:142
	ds_write2_b32 v48, v86, v88 offset1:30
	ds_write2_b32 v48, v57, v87 offset0:60 offset1:90
	ds_write2_b32 v48, v56, v59 offset0:120 offset1:150
	;; [unrolled: 1-line block ×4, first 2 shown]
	s_waitcnt lgkmcnt(0)
	s_barrier
	ds_read2_b32 v[5:6], v0 offset1:100
	ds_read2_b32 v[7:8], v67 offset0:72 offset1:172
	ds_read2_b32 v[17:18], v76 offset0:88 offset1:188
	;; [unrolled: 1-line block ×14, first 2 shown]
	v_mul_f32_e32 v96, 0xbf737871, v96
	v_fmac_f32_e32 v96, 0x3e9e377a, v62
	v_add_f32_e32 v62, v95, v96
	v_sub_f32_e32 v82, v95, v96
	s_waitcnt lgkmcnt(0)
	s_barrier
	ds_write2_b32 v85, v43, v44 offset1:30
	ds_write2_b32 v85, v41, v42 offset0:60 offset1:90
	ds_write2_b32 v85, v25, v30 offset0:120 offset1:150
	ds_write2_b32 v85, v27, v29 offset0:180 offset1:210
	ds_write2_b32 v91, v26, v28 offset0:112 offset1:142
	ds_write2_b32 v90, v31, v32 offset1:30
	ds_write2_b32 v90, v33, v34 offset0:60 offset1:90
	ds_write2_b32 v90, v35, v36 offset0:120 offset1:150
	ds_write2_b32 v90, v37, v38 offset0:180 offset1:210
	ds_write2_b32 v45, v39, v40 offset0:112 offset1:142
	;; [unrolled: 5-line block ×3, first 2 shown]
	s_waitcnt lgkmcnt(0)
	s_barrier
	s_and_saveexec_b64 s[8:9], vcc
	s_cbranch_execz .LBB0_15
; %bb.14:
	v_mul_u32_u24_e32 v25, 9, v80
	v_lshlrev_b32_e32 v25, 3, v25
	global_load_dwordx4 v[27:30], v25, s[12:13] offset:2320
	global_load_dwordx4 v[31:34], v25, s[12:13] offset:2336
	;; [unrolled: 1-line block ×4, first 2 shown]
	global_load_dwordx2 v[48:49], v25, s[12:13] offset:2384
	v_mul_lo_u32 v35, s1, v3
	v_mul_lo_u32 v50, s0, v4
	v_mad_u64_u32 v[25:26], s[0:1], s0, v3, 0
	v_mov_b32_e32 v3, 0xfffffc7c
	v_mov_b32_e32 v4, 0
	v_mad_u32_u24 v3, v80, 9, v3
	v_lshlrev_b64 v[60:61], 3, v[3:4]
	ds_read2_b32 v[44:45], v72 offset0:32 offset1:132
	ds_read2_b32 v[40:41], v69 offset0:120 offset1:220
	;; [unrolled: 1-line block ×10, first 2 shown]
	v_mov_b32_e32 v55, s13
	v_add_co_u32_e32 v60, vcc, s12, v60
	v_add3_u32 v26, v26, v50, v35
	v_addc_co_u32_e32 v61, vcc, v55, v61, vcc
	global_load_dwordx4 v[89:92], v[60:61], off offset:2320
	s_mov_b32 s0, 0x1b4e81b5
	s_movk_i32 s1, 0x1000
	s_waitcnt vmcnt(5) lgkmcnt(9)
	v_mul_f32_e32 v3, v29, v44
	s_waitcnt vmcnt(4) lgkmcnt(8)
	v_mul_f32_e32 v35, v33, v40
	;; [unrolled: 2-line block ×4, first 2 shown]
	v_mul_f32_e32 v44, v30, v44
	s_waitcnt lgkmcnt(4)
	v_mul_f32_e32 v62, v32, v72
	v_mul_f32_e32 v72, v31, v72
	v_fmac_f32_e32 v3, v13, v30
	v_fmac_f32_e32 v35, v11, v34
	;; [unrolled: 1-line block ×4, first 2 shown]
	v_fma_f32 v13, v13, v29, -v44
	v_fmac_f32_e32 v72, v57, v32
	v_sub_f32_e32 v29, v3, v35
	v_sub_f32_e32 v30, v50, v55
	v_add_f32_e32 v32, v35, v55
	v_mul_f32_e32 v40, v34, v40
	v_mul_f32_e32 v38, v88, v38
	;; [unrolled: 1-line block ×3, first 2 shown]
	s_waitcnt lgkmcnt(3)
	v_mul_f32_e32 v78, v86, v66
	s_waitcnt vmcnt(1) lgkmcnt(2)
	v_mul_f32_e32 v79, v49, v70
	s_waitcnt lgkmcnt(1)
	v_mul_f32_e32 v80, v82, v68
	v_add_f32_e32 v29, v29, v30
	v_fma_f32 v88, -0.5, v32, v36
	v_sub_f32_e32 v30, v35, v3
	v_sub_f32_e32 v32, v55, v50
	s_waitcnt lgkmcnt(0)
	v_mul_f32_e32 v93, v28, v64
	v_mul_f32_e32 v70, v48, v70
	;; [unrolled: 1-line block ×3, first 2 shown]
	v_fma_f32 v11, v11, v33, -v40
	v_fma_f32 v9, v9, v87, -v38
	;; [unrolled: 1-line block ×7, first 2 shown]
	v_add_f32_e32 v32, v30, v32
	v_add_f32_e32 v30, v3, v50
	v_mul_f32_e32 v66, v85, v66
	v_fma_f32 v48, v47, v27, -v93
	v_fmac_f32_e32 v70, v59, v49
	v_fmac_f32_e32 v68, v52, v82
	v_sub_f32_e32 v34, v38, v40
	v_sub_f32_e32 v49, v42, v44
	v_add_f32_e32 v52, v40, v44
	v_fma_f32 v98, -0.5, v30, v36
	v_sub_f32_e32 v30, v40, v38
	v_sub_f32_e32 v79, v44, v42
	v_fmac_f32_e32 v66, v54, v86
	v_sub_f32_e32 v33, v13, v15
	v_add_f32_e32 v34, v34, v49
	v_fma_f32 v49, -0.5, v52, v48
	v_mov_b32_e32 v52, v88
	v_mul_f32_e32 v27, v27, v64
	v_add_f32_e32 v79, v30, v79
	v_add_f32_e32 v30, v38, v42
	v_sub_f32_e32 v31, v11, v9
	v_fmac_f32_e32 v52, 0x3f737871, v33
	v_fmac_f32_e32 v27, v47, v28
	v_add_f32_e32 v28, v66, v68
	v_fma_f32 v100, -0.5, v30, v48
	v_sub_f32_e32 v30, v66, v72
	v_sub_f32_e32 v80, v68, v70
	v_fmac_f32_e32 v88, 0xbf737871, v33
	v_fmac_f32_e32 v52, 0x3f167918, v31
	v_fma_f32 v47, -0.5, v28, v27
	v_add_f32_e32 v80, v30, v80
	v_add_f32_e32 v30, v72, v70
	v_fmac_f32_e32 v88, 0xbf167918, v31
	v_sub_f32_e32 v59, v72, v66
	v_sub_f32_e32 v62, v70, v68
	v_fmac_f32_e32 v52, 0x3e9e377a, v29
	v_sub_f32_e32 v78, v38, v42
	v_mov_b32_e32 v64, v47
	v_fma_f32 v102, -0.5, v30, v27
	v_fmac_f32_e32 v88, 0x3e9e377a, v29
	v_add_f32_e32 v29, v3, v36
	v_add_f32_e32 v27, v72, v27
	v_sub_f32_e32 v54, v72, v70
	v_mov_b32_e32 v86, v49
	v_add_f32_e32 v59, v59, v62
	v_sub_f32_e32 v62, v40, v44
	v_fmac_f32_e32 v64, 0x3f737871, v78
	v_fmac_f32_e32 v47, 0xbf737871, v78
	v_add_f32_e32 v29, v35, v29
	v_add_f32_e32 v27, v66, v27
	v_sub_f32_e32 v57, v66, v68
	v_fmac_f32_e32 v86, 0xbf737871, v54
	v_fmac_f32_e32 v64, 0x3f167918, v62
	v_mov_b32_e32 v99, v98
	v_mov_b32_e32 v101, v100
	;; [unrolled: 1-line block ×3, first 2 shown]
	v_fmac_f32_e32 v47, 0xbf167918, v62
	v_fmac_f32_e32 v49, 0x3f737871, v54
	v_add_f32_e32 v29, v55, v29
	v_add_f32_e32 v27, v68, v27
	v_fmac_f32_e32 v86, 0xbf167918, v57
	v_fmac_f32_e32 v64, 0x3e9e377a, v59
	v_fmac_f32_e32 v99, 0xbf737871, v31
	v_fmac_f32_e32 v101, 0x3f737871, v57
	v_fmac_f32_e32 v103, 0xbf737871, v62
	v_fmac_f32_e32 v98, 0x3f737871, v31
	v_fmac_f32_e32 v102, 0x3f737871, v62
	v_fmac_f32_e32 v100, 0xbf737871, v57
	v_fmac_f32_e32 v47, 0x3e9e377a, v59
	v_fmac_f32_e32 v49, 0x3f167918, v57
	v_add_f32_e32 v57, v50, v29
	v_add_f32_e32 v59, v70, v27
	v_sub_f32_e32 v27, v13, v11
	v_sub_f32_e32 v29, v15, v9
	v_fmac_f32_e32 v86, 0x3e9e377a, v34
	v_mul_f32_e32 v28, 0x3f4f1bbd, v64
	v_fmac_f32_e32 v99, 0x3f167918, v33
	v_fmac_f32_e32 v101, 0xbf167918, v54
	;; [unrolled: 1-line block ×6, first 2 shown]
	v_add_f32_e32 v33, v27, v29
	v_add_f32_e32 v27, v11, v9
	v_fma_f32 v97, v86, s5, -v28
	v_fmac_f32_e32 v101, 0x3e9e377a, v79
	v_fmac_f32_e32 v103, 0x3e9e377a, v80
	;; [unrolled: 1-line block ×4, first 2 shown]
	global_load_dwordx4 v[78:81], v[60:61], off offset:2352
	global_load_dwordx4 v[82:85], v[60:61], off offset:2336
	;; [unrolled: 1-line block ×3, first 2 shown]
	v_fma_f32 v66, -0.5, v27, v7
	v_mul_f32_e32 v27, 0x3f4f1bbd, v86
	global_load_dwordx2 v[86:87], v[60:61], off offset:2384
	v_sub_f32_e32 v29, v11, v13
	v_sub_f32_e32 v31, v9, v15
	v_add_f32_e32 v31, v29, v31
	v_add_f32_e32 v29, v13, v15
	v_sub_f32_e32 v35, v35, v55
	v_fma_f32 v61, -0.5, v29, v7
	v_mul_f32_e32 v30, 0x3e9e377a, v103
	v_fmac_f32_e32 v49, 0x3e9e377a, v34
	v_sub_f32_e32 v3, v3, v50
	v_mov_b32_e32 v70, v61
	v_fmac_f32_e32 v61, 0xbf737871, v35
	v_fma_f32 v104, v101, s4, -v30
	v_mul_f32_e32 v105, 0xbf737871, v100
	v_mul_f32_e32 v54, 0xbf167918, v49
	v_fmac_f32_e32 v70, 0x3f737871, v35
	v_mul_f32_e32 v29, 0x3e9e377a, v101
	v_fmac_f32_e32 v61, 0x3f167918, v3
	v_mul_f32_e32 v101, 0x3f737871, v102
	v_add_f32_e32 v7, v7, v13
	v_fmac_f32_e32 v99, 0x3e9e377a, v32
	v_fmac_f32_e32 v98, 0x3e9e377a, v32
	;; [unrolled: 1-line block ×7, first 2 shown]
	v_add_f32_e32 v7, v7, v11
	v_sub_f32_e32 v28, v52, v97
	v_sub_f32_e32 v30, v99, v104
	;; [unrolled: 1-line block ×4, first 2 shown]
	v_fmac_f32_e32 v70, 0x3e9e377a, v31
	v_fma_f32 v72, v103, s2, -v29
	v_sub_f32_e32 v31, v61, v101
	v_add_f32_e32 v7, v7, v9
	v_add_f32_e32 v9, v38, v48
	;; [unrolled: 1-line block ×6, first 2 shown]
	ds_read2_b32 v[97:98], v76 offset0:88 offset1:188
	v_add_f32_e32 v54, v61, v101
	ds_read2_b32 v[99:100], v74 offset0:48 offset1:148
	ds_read2_b32 v[101:102], v75 offset0:96 offset1:196
	;; [unrolled: 1-line block ×3, first 2 shown]
	v_mov_b32_e32 v68, v66
	v_fmac_f32_e32 v66, 0x3f737871, v3
	v_add_f32_e32 v9, v40, v9
	v_fmac_f32_e32 v68, 0xbf737871, v3
	v_fmac_f32_e32 v66, 0x3f167918, v35
	v_mul_f32_e32 v3, 0x3f167918, v47
	v_add_f32_e32 v9, v44, v9
	v_fmac_f32_e32 v68, 0xbf167918, v35
	v_fmac_f32_e32 v66, 0x3e9e377a, v33
	;; [unrolled: 1-line block ×3, first 2 shown]
	v_add_f32_e32 v7, v15, v7
	v_add_f32_e32 v9, v42, v9
	v_sub_f32_e32 v36, v57, v59
	v_fmac_f32_e32 v68, 0x3e9e377a, v33
	v_sub_f32_e32 v33, v66, v3
	v_sub_f32_e32 v35, v7, v9
	v_add_f32_e32 v62, v57, v59
	v_add_f32_e32 v59, v66, v3
	;; [unrolled: 1-line block ×3, first 2 shown]
	s_waitcnt vmcnt(4) lgkmcnt(3)
	v_mul_f32_e32 v3, v91, v98
	v_fmac_f32_e32 v3, v18, v92
	v_mul_f32_e32 v38, v92, v98
	v_fma_f32 v18, v18, v91, -v38
	v_fma_f32 v64, v64, s3, -v27
	v_sub_f32_e32 v27, v68, v64
	v_add_f32_e32 v47, v68, v64
	v_sub_f32_e32 v29, v70, v72
	v_add_f32_e32 v49, v70, v72
	s_waitcnt vmcnt(3) lgkmcnt(0)
	v_mul_f32_e32 v13, v80, v104
	s_waitcnt vmcnt(2)
	v_mul_f32_e32 v7, v84, v100
	s_waitcnt vmcnt(1)
	v_mul_f32_e32 v11, v95, v102
	v_fmac_f32_e32 v7, v22, v85
	v_fmac_f32_e32 v11, v20, v96
	s_waitcnt vmcnt(0)
	v_mul_f32_e32 v57, v87, v69
	v_fmac_f32_e32 v13, v24, v81
	v_mul_f32_e32 v42, v83, v71
	v_mul_f32_e32 v44, v79, v65
	v_fma_f32 v88, v58, v86, -v57
	v_mul_f32_e32 v57, v94, v67
	v_sub_f32_e32 v9, v3, v7
	v_sub_f32_e32 v15, v11, v13
	v_fma_f32 v42, v56, v82, -v42
	v_fma_f32 v44, v53, v78, -v44
	;; [unrolled: 1-line block ×3, first 2 shown]
	v_mul_f32_e32 v82, v82, v71
	v_add_f32_e32 v9, v9, v15
	v_mul_f32_e32 v15, v85, v100
	v_sub_f32_e32 v52, v42, v44
	v_sub_f32_e32 v57, v88, v91
	v_fmac_f32_e32 v82, v56, v83
	v_mul_f32_e32 v83, v78, v65
	v_fma_f32 v15, v22, v84, -v15
	ds_read2_b32 v[84:85], v0 offset1:100
	v_mul_f32_e32 v0, v96, v102
	v_add_f32_e32 v92, v52, v57
	v_mul_f32_e32 v52, v90, v63
	v_mul_f32_e32 v56, v86, v69
	v_fmac_f32_e32 v83, v53, v79
	v_mul_f32_e32 v53, v93, v67
	v_fma_f32 v0, v20, v95, -v0
	v_fma_f32 v95, v46, v89, -v52
	v_add_f32_e32 v52, v44, v91
	v_fmac_f32_e32 v56, v58, v87
	v_fmac_f32_e32 v53, v51, v94
	v_fma_f32 v96, -0.5, v52, v95
	v_sub_f32_e32 v52, v82, v83
	v_sub_f32_e32 v57, v56, v53
	v_add_f32_e32 v64, v52, v57
	v_sub_f32_e32 v57, v7, v3
	v_sub_f32_e32 v66, v13, v11
	v_add_f32_e32 v66, v57, v66
	v_add_f32_e32 v57, v3, v11
	s_waitcnt lgkmcnt(0)
	v_fma_f32 v93, -0.5, v57, v85
	v_sub_f32_e32 v57, v44, v42
	v_sub_f32_e32 v67, v91, v88
	v_add_f32_e32 v38, v7, v13
	v_add_f32_e32 v67, v57, v67
	;; [unrolled: 1-line block ×3, first 2 shown]
	v_mul_f32_e32 v22, v81, v104
	v_fma_f32 v38, -0.5, v38, v85
	v_mul_f32_e32 v63, v89, v63
	v_fma_f32 v94, -0.5, v57, v95
	v_sub_f32_e32 v57, v83, v82
	v_sub_f32_e32 v68, v53, v56
	v_fma_f32 v22, v24, v80, -v22
	v_sub_f32_e32 v20, v18, v0
	v_mov_b32_e32 v40, v38
	v_fmac_f32_e32 v63, v46, v90
	v_add_f32_e32 v68, v57, v68
	v_add_f32_e32 v57, v82, v56
	v_sub_f32_e32 v24, v15, v22
	v_fmac_f32_e32 v40, 0x3f737871, v20
	v_add_f32_e32 v46, v83, v53
	v_fma_f32 v100, -0.5, v57, v63
	v_fmac_f32_e32 v38, 0xbf737871, v20
	v_fmac_f32_e32 v40, 0x3f167918, v24
	v_sub_f32_e32 v51, v83, v53
	v_sub_f32_e32 v69, v44, v91
	v_fma_f32 v46, -0.5, v46, v63
	v_mov_b32_e32 v90, v93
	v_mov_b32_e32 v98, v94
	;; [unrolled: 1-line block ×3, first 2 shown]
	v_fmac_f32_e32 v38, 0xbf167918, v24
	v_fmac_f32_e32 v40, 0x3e9e377a, v9
	v_sub_f32_e32 v58, v82, v56
	v_sub_f32_e32 v65, v42, v88
	v_mov_b32_e32 v87, v46
	v_fmac_f32_e32 v90, 0xbf737871, v24
	v_fmac_f32_e32 v98, 0x3f737871, v51
	v_fmac_f32_e32 v102, 0xbf737871, v69
	v_fmac_f32_e32 v93, 0x3f737871, v24
	v_fmac_f32_e32 v100, 0x3f737871, v69
	v_fmac_f32_e32 v94, 0xbf737871, v51
	v_fmac_f32_e32 v38, 0x3e9e377a, v9
	v_mul_u32_u24_e32 v9, 9, v73
	v_fmac_f32_e32 v87, 0x3f737871, v65
	v_fmac_f32_e32 v90, 0x3f167918, v20
	;; [unrolled: 1-line block ×8, first 2 shown]
	v_lshlrev_b32_e32 v9, 3, v9
	v_fmac_f32_e32 v87, 0x3f167918, v69
	v_fmac_f32_e32 v90, 0x3e9e377a, v66
	;; [unrolled: 1-line block ×7, first 2 shown]
	global_load_dwordx4 v[65:68], v9, s[12:13] offset:2320
	v_fmac_f32_e32 v46, 0xbf167918, v69
	global_load_dwordx4 v[69:72], v9, s[12:13] offset:2336
	global_load_dwordx4 v[74:77], v9, s[12:13] offset:2368
	;; [unrolled: 1-line block ×3, first 2 shown]
	v_mov_b32_e32 v86, v96
	v_add_f32_e32 v24, v82, v63
	v_fmac_f32_e32 v86, 0xbf737871, v58
	v_fmac_f32_e32 v96, 0x3f737871, v58
	v_add_f32_e32 v24, v83, v24
	v_fmac_f32_e32 v86, 0xbf167918, v51
	v_fmac_f32_e32 v96, 0x3f167918, v51
	v_add_f32_e32 v24, v53, v24
	v_sub_f32_e32 v51, v18, v15
	v_sub_f32_e32 v53, v0, v22
	v_add_f32_e32 v53, v51, v53
	v_add_f32_e32 v51, v3, v85
	v_fmac_f32_e32 v87, 0x3e9e377a, v64
	v_add_f32_e32 v51, v7, v51
	v_fmac_f32_e32 v86, 0x3e9e377a, v92
	v_mul_f32_e32 v52, 0x3f4f1bbd, v87
	v_add_f32_e32 v51, v13, v51
	v_fma_f32 v89, v86, s5, -v52
	v_add_f32_e32 v58, v11, v51
	v_sub_f32_e32 v3, v3, v11
	v_mul_f32_e32 v11, 0x3f4f1bbd, v86
	global_load_dwordx2 v[85:86], v9, s[12:13] offset:2384
	v_sub_f32_e32 v7, v7, v13
	v_sub_f32_e32 v13, v15, v18
	;; [unrolled: 1-line block ×3, first 2 shown]
	v_add_f32_e32 v13, v13, v51
	v_add_f32_e32 v51, v18, v0
	v_mul_f32_e32 v57, 0x3e9e377a, v102
	v_fma_f32 v9, -0.5, v51, v6
	v_mul_f32_e32 v51, 0x3e9e377a, v98
	v_fma_f32 v104, v98, s4, -v57
	v_fma_f32 v98, v102, s2, -v51
	v_mov_b32_e32 v102, v9
	v_fmac_f32_e32 v102, 0x3f737871, v7
	v_fmac_f32_e32 v9, 0xbf737871, v7
	;; [unrolled: 1-line block ×6, first 2 shown]
	v_add_f32_e32 v13, v15, v22
	v_fma_f32 v13, -0.5, v13, v6
	v_add_f32_e32 v6, v6, v18
	v_add_f32_e32 v6, v6, v15
	;; [unrolled: 1-line block ×5, first 2 shown]
	v_fmac_f32_e32 v46, 0x3e9e377a, v64
	v_fmac_f32_e32 v96, 0x3e9e377a, v92
	v_fma_f32 v11, v87, s3, -v11
	v_mov_b32_e32 v87, v13
	v_fmac_f32_e32 v13, 0x3f737871, v3
	v_add_f32_e32 v6, v44, v6
	v_mul_f32_e32 v105, 0xbf737871, v94
	v_mul_f32_e32 v20, 0xbf167918, v96
	v_fmac_f32_e32 v87, 0xbf737871, v3
	v_fmac_f32_e32 v13, 0x3f167918, v7
	v_mul_f32_e32 v3, 0x3f167918, v46
	v_add_f32_e32 v6, v91, v6
	v_fmac_f32_e32 v105, 0x3e9e377a, v100
	v_fmac_f32_e32 v20, 0x3f4f1bbd, v46
	v_mul_f32_e32 v100, 0x3f737871, v100
	v_fmac_f32_e32 v13, 0x3e9e377a, v53
	v_fmac_f32_e32 v3, 0x3f4f1bbd, v96
	v_add_f32_e32 v15, v88, v6
	v_sub_f32_e32 v64, v93, v105
	v_sub_f32_e32 v83, v38, v20
	v_fmac_f32_e32 v100, 0x3e9e377a, v94
	v_fmac_f32_e32 v87, 0xbf167918, v7
	v_sub_f32_e32 v82, v13, v3
	v_sub_f32_e32 v6, v0, v15
	v_add_f32_e32 v92, v93, v105
	v_add_f32_e32 v94, v38, v20
	;; [unrolled: 1-line block ×4, first 2 shown]
	v_fmac_f32_e32 v87, 0x3e9e377a, v53
	s_waitcnt vmcnt(4)
	v_mul_f32_e32 v0, v67, v97
	v_fmac_f32_e32 v0, v17, v68
	s_waitcnt vmcnt(3)
	v_mul_f32_e32 v3, v71, v99
	s_waitcnt vmcnt(2)
	v_mul_f32_e32 v18, v76, v101
	;; [unrolled: 2-line block ×3, first 2 shown]
	v_fmac_f32_e32 v3, v21, v72
	v_fmac_f32_e32 v18, v19, v77
	;; [unrolled: 1-line block ×3, first 2 shown]
	v_sub_f32_e32 v51, v87, v11
	v_sub_f32_e32 v63, v9, v100
	v_add_f32_e32 v87, v87, v11
	v_add_f32_e32 v91, v9, v100
	v_sub_f32_e32 v9, v0, v3
	v_sub_f32_e32 v11, v18, v20
	v_add_f32_e32 v15, v9, v11
	v_mul_f32_e32 v9, v72, v99
	v_fma_f32 v21, v21, v71, -v9
	v_mul_f32_e32 v9, v81, v103
	v_add_f32_e32 v24, v56, v24
	v_fma_f32 v22, v23, v80, -v9
	v_mul_f32_e32 v9, v68, v97
	v_sub_f32_e32 v7, v58, v24
	v_add_f32_e32 v96, v58, v24
	v_fma_f32 v24, v17, v67, -v9
	v_mul_f32_e32 v9, v77, v101
	v_fma_f32 v19, v19, v76, -v9
	v_add_f32_e32 v9, v3, v20
	v_fma_f32 v38, -0.5, v9, v84
	v_mul_f32_e32 v9, v70, v45
	s_waitcnt vmcnt(0)
	v_mul_f32_e32 v11, v86, v43
	v_fma_f32 v42, v14, v69, -v9
	v_mul_f32_e32 v9, v79, v41
	v_fma_f32 v46, v16, v85, -v11
	;; [unrolled: 2-line block ×3, first 2 shown]
	v_fma_f32 v53, v10, v74, -v11
	v_sub_f32_e32 v9, v42, v44
	v_sub_f32_e32 v11, v46, v53
	v_mul_f32_e32 v45, v69, v45
	v_mul_f32_e32 v41, v78, v41
	v_add_f32_e32 v58, v9, v11
	v_mul_f32_e32 v9, v66, v37
	v_fmac_f32_e32 v45, v14, v70
	v_mul_f32_e32 v14, v85, v43
	v_fmac_f32_e32 v41, v12, v79
	v_mul_f32_e32 v12, v74, v39
	v_fma_f32 v67, v8, v65, -v9
	v_add_f32_e32 v9, v44, v53
	v_fmac_f32_e32 v14, v16, v86
	v_fmac_f32_e32 v12, v10, v75
	v_fma_f32 v68, -0.5, v9, v67
	v_sub_f32_e32 v9, v45, v41
	v_sub_f32_e32 v11, v14, v12
	v_add_f32_e32 v39, v9, v11
	v_sub_f32_e32 v11, v3, v0
	v_sub_f32_e32 v13, v20, v18
	v_add_f32_e32 v13, v11, v13
	v_add_f32_e32 v11, v0, v18
	v_fma_f32 v71, -0.5, v11, v84
	v_sub_f32_e32 v11, v44, v42
	v_sub_f32_e32 v74, v53, v46
	v_add_f32_e32 v74, v11, v74
	v_add_f32_e32 v11, v42, v46
	v_sub_f32_e32 v16, v45, v14
	v_mov_b32_e32 v43, v68
	v_fma_f32 v75, -0.5, v11, v67
	v_fmac_f32_e32 v43, 0xbf737871, v16
	v_sub_f32_e32 v10, v41, v12
	v_mov_b32_e32 v76, v75
	v_fmac_f32_e32 v68, 0x3f737871, v16
	v_fmac_f32_e32 v43, 0xbf167918, v10
	;; [unrolled: 1-line block ×5, first 2 shown]
	v_add_f32_e32 v10, v0, v84
	v_mul_f32_e32 v37, v65, v37
	v_add_f32_e32 v10, v3, v10
	v_fmac_f32_e32 v37, v8, v66
	v_add_f32_e32 v10, v20, v10
	v_fmac_f32_e32 v43, 0x3e9e377a, v58
	;; [unrolled: 2-line block ×3, first 2 shown]
	v_add_f32_e32 v58, v18, v10
	v_add_f32_e32 v10, v45, v37
	v_fma_f32 v65, -0.5, v8, v37
	v_sub_f32_e32 v11, v41, v45
	v_sub_f32_e32 v77, v12, v14
	v_add_f32_e32 v10, v41, v10
	v_sub_f32_e32 v70, v42, v46
	v_mov_b32_e32 v8, v65
	v_add_f32_e32 v77, v11, v77
	v_add_f32_e32 v11, v45, v14
	;; [unrolled: 1-line block ×3, first 2 shown]
	v_sub_f32_e32 v69, v44, v53
	v_fmac_f32_e32 v8, 0x3f737871, v70
	v_fma_f32 v78, -0.5, v11, v37
	v_add_f32_e32 v37, v14, v10
	v_sub_f32_e32 v10, v24, v21
	v_sub_f32_e32 v12, v19, v22
	v_fmac_f32_e32 v8, 0x3f167918, v69
	v_add_f32_e32 v14, v10, v12
	v_add_f32_e32 v10, v21, v22
	v_fmac_f32_e32 v8, 0x3e9e377a, v39
	v_fma_f32 v41, -0.5, v10, v5
	v_mul_f32_e32 v10, 0x3f4f1bbd, v43
	v_sub_f32_e32 v3, v3, v20
	v_fma_f32 v20, v8, s3, -v10
	v_sub_f32_e32 v10, v21, v24
	v_sub_f32_e32 v12, v22, v19
	v_mul_f32_e32 v9, 0x3f4f1bbd, v8
	v_add_f32_e32 v12, v10, v12
	v_add_f32_e32 v10, v24, v19
	v_fma_f32 v66, v43, s5, -v9
	v_sub_f32_e32 v0, v0, v18
	v_mov_b32_e32 v18, v41
	v_fma_f32 v43, -0.5, v10, v5
	v_fmac_f32_e32 v65, 0xbf737871, v70
	v_fmac_f32_e32 v18, 0xbf737871, v0
	v_mov_b32_e32 v45, v43
	v_fmac_f32_e32 v41, 0x3f737871, v0
	v_sub_f32_e32 v52, v40, v89
	v_add_f32_e32 v88, v40, v89
	v_sub_f32_e32 v17, v24, v19
	v_mov_b32_e32 v40, v38
	v_fmac_f32_e32 v65, 0xbf167918, v69
	v_fmac_f32_e32 v18, 0xbf167918, v3
	;; [unrolled: 1-line block ×5, first 2 shown]
	v_add_f32_e32 v3, v5, v24
	v_mul_hi_u32 v24, v73, s0
	v_sub_f32_e32 v23, v21, v22
	v_fmac_f32_e32 v40, 0x3f737871, v17
	v_fmac_f32_e32 v65, 0x3e9e377a, v39
	;; [unrolled: 1-line block ×3, first 2 shown]
	v_mov_b32_e32 v72, v71
	v_fmac_f32_e32 v45, 0xbf167918, v0
	v_fmac_f32_e32 v43, 0x3f167918, v0
	v_mul_f32_e32 v0, 0x3f167918, v65
	v_add_f32_e32 v3, v3, v21
	v_add_f32_e32 v5, v42, v67
	v_fmac_f32_e32 v40, 0x3e9e377a, v15
	v_fmac_f32_e32 v72, 0xbf737871, v23
	;; [unrolled: 1-line block ×6, first 2 shown]
	v_add_f32_e32 v3, v3, v22
	v_add_f32_e32 v5, v44, v5
	v_sub_f32_e32 v9, v40, v66
	v_fmac_f32_e32 v72, 0x3f167918, v17
	v_fmac_f32_e32 v71, 0xbf167918, v17
	;; [unrolled: 1-line block ×3, first 2 shown]
	v_mul_f32_e32 v39, 0xbf167918, v68
	v_sub_f32_e32 v17, v58, v37
	v_fmac_f32_e32 v18, 0x3e9e377a, v14
	v_sub_f32_e32 v14, v41, v0
	v_add_f32_e32 v3, v19, v3
	v_add_f32_e32 v5, v53, v5
	;; [unrolled: 1-line block ×5, first 2 shown]
	v_lshrrev_b32_e32 v0, 5, v24
	v_lshlrev_b64 v[24:25], 3, v[25:26]
	v_fmac_f32_e32 v38, 0x3e9e377a, v15
	v_fmac_f32_e32 v39, 0x3f4f1bbd, v65
	v_add_f32_e32 v5, v46, v5
	v_mul_u32_u24_e32 v0, 0x12c, v0
	v_fmac_f32_e32 v76, 0xbf167918, v16
	v_fmac_f32_e32 v75, 0x3f167918, v16
	v_sub_f32_e32 v15, v38, v39
	v_sub_f32_e32 v16, v3, v5
	v_add_f32_e32 v38, v38, v39
	v_add_f32_e32 v39, v3, v5
	v_sub_u32_e32 v3, v73, v0
	v_mov_b32_e32 v0, s11
	v_add_co_u32_e32 v5, vcc, s10, v24
	v_addc_co_u32_e32 v24, vcc, v0, v25, vcc
	v_lshlrev_b64 v[0:1], 3, v[1:2]
	v_mov_b32_e32 v79, v78
	v_fmac_f32_e32 v78, 0x3f737871, v69
	v_add_co_u32_e32 v5, vcc, v5, v0
	v_fmac_f32_e32 v79, 0xbf737871, v69
	v_fmac_f32_e32 v78, 0xbf167918, v70
	v_addc_co_u32_e32 v24, vcc, v24, v1, vcc
	v_lshlrev_b32_e32 v0, 3, v3
	v_fmac_f32_e32 v79, 0x3f167918, v70
	v_fmac_f32_e32 v78, 0x3e9e377a, v77
	;; [unrolled: 1-line block ×3, first 2 shown]
	v_add_co_u32_e32 v0, vcc, v5, v0
	v_fmac_f32_e32 v76, 0x3e9e377a, v74
	v_fmac_f32_e32 v79, 0x3e9e377a, v77
	v_mul_f32_e32 v74, 0xbf737871, v75
	v_mul_f32_e32 v70, 0x3f737871, v78
	v_addc_co_u32_e32 v1, vcc, 0, v24, vcc
	v_mul_f32_e32 v11, 0x3e9e377a, v79
	v_fmac_f32_e32 v71, 0x3e9e377a, v13
	v_fmac_f32_e32 v74, 0x3e9e377a, v78
	v_mul_f32_e32 v10, 0x3e9e377a, v76
	v_fmac_f32_e32 v43, 0x3e9e377a, v12
	v_fmac_f32_e32 v70, 0x3e9e377a, v75
	v_add_co_u32_e32 v2, vcc, s1, v0
	v_fmac_f32_e32 v72, 0x3e9e377a, v13
	v_fma_f32 v80, v76, s4, -v11
	v_fmac_f32_e32 v45, 0x3e9e377a, v12
	v_fma_f32 v69, v79, s2, -v10
	v_add_f32_e32 v23, v71, v74
	v_add_f32_e32 v22, v43, v70
	v_addc_co_u32_e32 v3, vcc, 0, v1, vcc
	v_sub_f32_e32 v8, v18, v20
	v_add_f32_e32 v21, v72, v80
	v_add_f32_e32 v18, v18, v20
	;; [unrolled: 1-line block ×3, first 2 shown]
	global_store_dwordx2 v[0:1], v[39:40], off
	global_store_dwordx2 v[0:1], v[37:38], off offset:2400
	global_store_dwordx2 v[2:3], v[22:23], off offset:704
	;; [unrolled: 1-line block ×3, first 2 shown]
	v_add_co_u32_e32 v2, vcc, s6, v0
	v_addc_co_u32_e32 v3, vcc, 0, v1, vcc
	s_movk_i32 s1, 0x3000
	global_store_dwordx2 v[2:3], v[18:19], off offset:1408
	global_store_dwordx2 v[2:3], v[16:17], off offset:3808
	v_add_co_u32_e32 v2, vcc, s1, v0
	v_addc_co_u32_e32 v3, vcc, 0, v1, vcc
	s_movk_i32 s1, 0x4000
	global_store_dwordx2 v[2:3], v[14:15], off offset:2112
	v_add_co_u32_e32 v2, vcc, s1, v0
	v_sub_f32_e32 v13, v71, v74
	v_sub_f32_e32 v12, v43, v70
	v_addc_co_u32_e32 v3, vcc, 0, v1, vcc
	v_sub_f32_e32 v11, v72, v80
	v_sub_f32_e32 v10, v45, v69
	global_store_dwordx2 v[2:3], v[12:13], off offset:416
	global_store_dwordx2 v[2:3], v[10:11], off offset:2816
	v_add_u32_e32 v2, 0x64, v73
	v_mul_hi_u32 v3, v2, s0
	s_movk_i32 s1, 0x5000
	v_add_co_u32_e32 v0, vcc, s1, v0
	v_addc_co_u32_e32 v1, vcc, 0, v1, vcc
	global_store_dwordx2 v[0:1], v[8:9], off offset:1120
	v_lshrrev_b32_e32 v0, 5, v3
	v_mul_u32_u24_e32 v1, 0x12c, v0
	v_sub_u32_e32 v1, v2, v1
	s_movk_i32 s1, 0xbb8
	v_mad_u32_u24 v3, v0, s1, v1
	v_lshlrev_b64 v[0:1], 3, v[3:4]
	v_sub_f32_e32 v57, v90, v104
	v_add_co_u32_e32 v0, vcc, v5, v0
	v_addc_co_u32_e32 v1, vcc, v24, v1, vcc
	global_store_dwordx2 v[0:1], v[95:96], off
	v_add_u32_e32 v0, 0x12c, v3
	v_mov_b32_e32 v1, v4
	v_lshlrev_b64 v[0:1], 3, v[0:1]
	v_add_f32_e32 v90, v90, v104
	v_add_co_u32_e32 v0, vcc, v5, v0
	v_addc_co_u32_e32 v1, vcc, v24, v1, vcc
	global_store_dwordx2 v[0:1], v[93:94], off
	v_add_u32_e32 v0, 0x258, v3
	v_mov_b32_e32 v1, v4
	v_lshlrev_b64 v[0:1], 3, v[0:1]
	v_add_f32_e32 v89, v102, v98
	v_add_co_u32_e32 v0, vcc, v5, v0
	v_addc_co_u32_e32 v1, vcc, v24, v1, vcc
	global_store_dwordx2 v[0:1], v[91:92], off
	v_add_u32_e32 v0, 0x384, v3
	v_mov_b32_e32 v1, v4
	v_lshlrev_b64 v[0:1], 3, v[0:1]
	v_sub_f32_e32 v56, v102, v98
	v_add_co_u32_e32 v0, vcc, v5, v0
	v_addc_co_u32_e32 v1, vcc, v24, v1, vcc
	global_store_dwordx2 v[0:1], v[89:90], off
	v_add_u32_e32 v0, 0x4b0, v3
	v_mov_b32_e32 v1, v4
	v_lshlrev_b64 v[0:1], 3, v[0:1]
	v_add_u32_e32 v2, 0xc8, v73
	v_add_co_u32_e32 v0, vcc, v5, v0
	v_addc_co_u32_e32 v1, vcc, v24, v1, vcc
	global_store_dwordx2 v[0:1], v[87:88], off
	v_add_u32_e32 v0, 0x5dc, v3
	v_mov_b32_e32 v1, v4
	v_lshlrev_b64 v[0:1], 3, v[0:1]
	v_add_co_u32_e32 v0, vcc, v5, v0
	v_addc_co_u32_e32 v1, vcc, v24, v1, vcc
	global_store_dwordx2 v[0:1], v[6:7], off
	v_add_u32_e32 v0, 0x708, v3
	v_mov_b32_e32 v1, v4
	v_lshlrev_b64 v[0:1], 3, v[0:1]
	;; [unrolled: 6-line block ×4, first 2 shown]
	v_add_u32_e32 v3, 0xa8c, v3
	v_add_co_u32_e32 v0, vcc, v5, v0
	v_addc_co_u32_e32 v1, vcc, v24, v1, vcc
	global_store_dwordx2 v[0:1], v[56:57], off
	v_lshlrev_b64 v[0:1], 3, v[3:4]
	v_mul_hi_u32 v3, v2, s0
	v_add_co_u32_e32 v0, vcc, v5, v0
	v_addc_co_u32_e32 v1, vcc, v24, v1, vcc
	global_store_dwordx2 v[0:1], v[51:52], off
	v_lshrrev_b32_e32 v0, 5, v3
	v_mul_u32_u24_e32 v1, 0x12c, v0
	v_sub_u32_e32 v1, v2, v1
	v_mad_u32_u24 v3, v0, s1, v1
	v_lshlrev_b64 v[0:1], 3, v[3:4]
	v_add_co_u32_e32 v0, vcc, v5, v0
	v_addc_co_u32_e32 v1, vcc, v24, v1, vcc
	global_store_dwordx2 v[0:1], v[61:62], off
	v_add_u32_e32 v0, 0x12c, v3
	v_mov_b32_e32 v1, v4
	v_lshlrev_b64 v[0:1], 3, v[0:1]
	v_add_co_u32_e32 v0, vcc, v5, v0
	v_addc_co_u32_e32 v1, vcc, v24, v1, vcc
	global_store_dwordx2 v[0:1], v[59:60], off
	v_add_u32_e32 v0, 0x258, v3
	v_mov_b32_e32 v1, v4
	;; [unrolled: 6-line block ×8, first 2 shown]
	v_lshlrev_b64 v[0:1], 3, v[0:1]
	v_add_u32_e32 v3, 0xa8c, v3
	v_add_co_u32_e32 v0, vcc, v5, v0
	v_addc_co_u32_e32 v1, vcc, v24, v1, vcc
	global_store_dwordx2 v[0:1], v[29:30], off
	v_lshlrev_b64 v[0:1], 3, v[3:4]
	v_add_co_u32_e32 v0, vcc, v5, v0
	v_addc_co_u32_e32 v1, vcc, v24, v1, vcc
	global_store_dwordx2 v[0:1], v[27:28], off
.LBB0_15:
	s_endpgm
	.section	.rodata,"a",@progbits
	.p2align	6, 0x0
	.amdhsa_kernel fft_rtc_fwd_len3000_factors_10_3_10_10_wgs_100_tpt_100_halfLds_sp_op_CI_CI_unitstride_sbrr_dirReg
		.amdhsa_group_segment_fixed_size 0
		.amdhsa_private_segment_fixed_size 0
		.amdhsa_kernarg_size 104
		.amdhsa_user_sgpr_count 6
		.amdhsa_user_sgpr_private_segment_buffer 1
		.amdhsa_user_sgpr_dispatch_ptr 0
		.amdhsa_user_sgpr_queue_ptr 0
		.amdhsa_user_sgpr_kernarg_segment_ptr 1
		.amdhsa_user_sgpr_dispatch_id 0
		.amdhsa_user_sgpr_flat_scratch_init 0
		.amdhsa_user_sgpr_private_segment_size 0
		.amdhsa_uses_dynamic_stack 0
		.amdhsa_system_sgpr_private_segment_wavefront_offset 0
		.amdhsa_system_sgpr_workgroup_id_x 1
		.amdhsa_system_sgpr_workgroup_id_y 0
		.amdhsa_system_sgpr_workgroup_id_z 0
		.amdhsa_system_sgpr_workgroup_info 0
		.amdhsa_system_vgpr_workitem_id 0
		.amdhsa_next_free_vgpr 135
		.amdhsa_next_free_sgpr 28
		.amdhsa_reserve_vcc 1
		.amdhsa_reserve_flat_scratch 0
		.amdhsa_float_round_mode_32 0
		.amdhsa_float_round_mode_16_64 0
		.amdhsa_float_denorm_mode_32 3
		.amdhsa_float_denorm_mode_16_64 3
		.amdhsa_dx10_clamp 1
		.amdhsa_ieee_mode 1
		.amdhsa_fp16_overflow 0
		.amdhsa_exception_fp_ieee_invalid_op 0
		.amdhsa_exception_fp_denorm_src 0
		.amdhsa_exception_fp_ieee_div_zero 0
		.amdhsa_exception_fp_ieee_overflow 0
		.amdhsa_exception_fp_ieee_underflow 0
		.amdhsa_exception_fp_ieee_inexact 0
		.amdhsa_exception_int_div_zero 0
	.end_amdhsa_kernel
	.text
.Lfunc_end0:
	.size	fft_rtc_fwd_len3000_factors_10_3_10_10_wgs_100_tpt_100_halfLds_sp_op_CI_CI_unitstride_sbrr_dirReg, .Lfunc_end0-fft_rtc_fwd_len3000_factors_10_3_10_10_wgs_100_tpt_100_halfLds_sp_op_CI_CI_unitstride_sbrr_dirReg
                                        ; -- End function
	.section	.AMDGPU.csdata,"",@progbits
; Kernel info:
; codeLenInByte = 16232
; NumSgprs: 32
; NumVgprs: 135
; ScratchSize: 0
; MemoryBound: 0
; FloatMode: 240
; IeeeMode: 1
; LDSByteSize: 0 bytes/workgroup (compile time only)
; SGPRBlocks: 3
; VGPRBlocks: 33
; NumSGPRsForWavesPerEU: 32
; NumVGPRsForWavesPerEU: 135
; Occupancy: 1
; WaveLimiterHint : 1
; COMPUTE_PGM_RSRC2:SCRATCH_EN: 0
; COMPUTE_PGM_RSRC2:USER_SGPR: 6
; COMPUTE_PGM_RSRC2:TRAP_HANDLER: 0
; COMPUTE_PGM_RSRC2:TGID_X_EN: 1
; COMPUTE_PGM_RSRC2:TGID_Y_EN: 0
; COMPUTE_PGM_RSRC2:TGID_Z_EN: 0
; COMPUTE_PGM_RSRC2:TIDIG_COMP_CNT: 0
	.type	__hip_cuid_609a755f6d8e2f1b,@object ; @__hip_cuid_609a755f6d8e2f1b
	.section	.bss,"aw",@nobits
	.globl	__hip_cuid_609a755f6d8e2f1b
__hip_cuid_609a755f6d8e2f1b:
	.byte	0                               ; 0x0
	.size	__hip_cuid_609a755f6d8e2f1b, 1

	.ident	"AMD clang version 19.0.0git (https://github.com/RadeonOpenCompute/llvm-project roc-6.4.0 25133 c7fe45cf4b819c5991fe208aaa96edf142730f1d)"
	.section	".note.GNU-stack","",@progbits
	.addrsig
	.addrsig_sym __hip_cuid_609a755f6d8e2f1b
	.amdgpu_metadata
---
amdhsa.kernels:
  - .args:
      - .actual_access:  read_only
        .address_space:  global
        .offset:         0
        .size:           8
        .value_kind:     global_buffer
      - .offset:         8
        .size:           8
        .value_kind:     by_value
      - .actual_access:  read_only
        .address_space:  global
        .offset:         16
        .size:           8
        .value_kind:     global_buffer
      - .actual_access:  read_only
        .address_space:  global
        .offset:         24
        .size:           8
        .value_kind:     global_buffer
      - .actual_access:  read_only
        .address_space:  global
        .offset:         32
        .size:           8
        .value_kind:     global_buffer
      - .offset:         40
        .size:           8
        .value_kind:     by_value
      - .actual_access:  read_only
        .address_space:  global
        .offset:         48
        .size:           8
        .value_kind:     global_buffer
      - .actual_access:  read_only
        .address_space:  global
        .offset:         56
        .size:           8
        .value_kind:     global_buffer
      - .offset:         64
        .size:           4
        .value_kind:     by_value
      - .actual_access:  read_only
        .address_space:  global
        .offset:         72
        .size:           8
        .value_kind:     global_buffer
      - .actual_access:  read_only
        .address_space:  global
        .offset:         80
        .size:           8
        .value_kind:     global_buffer
      - .actual_access:  read_only
        .address_space:  global
        .offset:         88
        .size:           8
        .value_kind:     global_buffer
      - .actual_access:  write_only
        .address_space:  global
        .offset:         96
        .size:           8
        .value_kind:     global_buffer
    .group_segment_fixed_size: 0
    .kernarg_segment_align: 8
    .kernarg_segment_size: 104
    .language:       OpenCL C
    .language_version:
      - 2
      - 0
    .max_flat_workgroup_size: 100
    .name:           fft_rtc_fwd_len3000_factors_10_3_10_10_wgs_100_tpt_100_halfLds_sp_op_CI_CI_unitstride_sbrr_dirReg
    .private_segment_fixed_size: 0
    .sgpr_count:     32
    .sgpr_spill_count: 0
    .symbol:         fft_rtc_fwd_len3000_factors_10_3_10_10_wgs_100_tpt_100_halfLds_sp_op_CI_CI_unitstride_sbrr_dirReg.kd
    .uniform_work_group_size: 1
    .uses_dynamic_stack: false
    .vgpr_count:     135
    .vgpr_spill_count: 0
    .wavefront_size: 64
amdhsa.target:   amdgcn-amd-amdhsa--gfx906
amdhsa.version:
  - 1
  - 2
...

	.end_amdgpu_metadata
